;; amdgpu-corpus repo=ROCm/rocFFT kind=compiled arch=gfx1201 opt=O3
	.text
	.amdgcn_target "amdgcn-amd-amdhsa--gfx1201"
	.amdhsa_code_object_version 6
	.protected	bluestein_single_fwd_len845_dim1_sp_op_CI_CI ; -- Begin function bluestein_single_fwd_len845_dim1_sp_op_CI_CI
	.globl	bluestein_single_fwd_len845_dim1_sp_op_CI_CI
	.p2align	8
	.type	bluestein_single_fwd_len845_dim1_sp_op_CI_CI,@function
bluestein_single_fwd_len845_dim1_sp_op_CI_CI: ; @bluestein_single_fwd_len845_dim1_sp_op_CI_CI
; %bb.0:
	s_load_b128 s[12:15], s[0:1], 0x28
	v_mul_u32_u24_e32 v1, 0x3f1, v0
	s_mov_b32 s2, exec_lo
	s_delay_alu instid0(VALU_DEP_1) | instskip(NEXT) | instid1(VALU_DEP_1)
	v_lshrrev_b32_e32 v1, 16, v1
	v_mad_co_u64_u32 v[88:89], null, ttmp9, 3, v[1:2]
	v_mov_b32_e32 v89, 0
                                        ; kill: def $vgpr2 killed $sgpr0 killed $exec
	s_wait_kmcnt 0x0
	s_delay_alu instid0(VALU_DEP_1)
	v_cmpx_gt_u64_e64 s[12:13], v[88:89]
	s_cbranch_execz .LBB0_10
; %bb.1:
	s_clause 0x1
	s_load_b128 s[4:7], s[0:1], 0x18
	s_load_b128 s[8:11], s[0:1], 0x0
	v_mul_lo_u16 v1, 0x41, v1
	s_load_b64 s[0:1], s[0:1], 0x38
	s_delay_alu instid0(VALU_DEP_1) | instskip(NEXT) | instid1(VALU_DEP_1)
	v_sub_nc_u16 v22, v0, v1
	v_and_b32_e32 v105, 0xffff, v22
	s_delay_alu instid0(VALU_DEP_1)
	v_lshlrev_b32_e32 v58, 3, v105
	s_wait_kmcnt 0x0
	s_load_b128 s[16:19], s[4:5], 0x0
	s_clause 0xa
	global_load_b64 v[99:100], v58, s[8:9]
	global_load_b64 v[101:102], v58, s[8:9] offset:520
	global_load_b64 v[97:98], v58, s[8:9] offset:1040
	;; [unrolled: 1-line block ×10, first 2 shown]
	s_wait_kmcnt 0x0
	v_mad_co_u64_u32 v[0:1], null, s18, v88, 0
	v_mad_co_u64_u32 v[2:3], null, s16, v105, 0
	s_mul_u64 s[2:3], s[16:17], 0x208
	s_delay_alu instid0(VALU_DEP_1) | instskip(NEXT) | instid1(VALU_DEP_1)
	v_mad_co_u64_u32 v[4:5], null, s19, v88, v[1:2]
	v_mad_co_u64_u32 v[5:6], null, s17, v105, v[3:4]
	v_mov_b32_e32 v1, v4
	s_delay_alu instid0(VALU_DEP_1) | instskip(NEXT) | instid1(VALU_DEP_3)
	v_lshlrev_b64_e32 v[0:1], 3, v[0:1]
	v_mov_b32_e32 v3, v5
	s_delay_alu instid0(VALU_DEP_2) | instskip(NEXT) | instid1(VALU_DEP_2)
	v_add_co_u32 v0, vcc_lo, s14, v0
	v_lshlrev_b64_e32 v[2:3], 3, v[2:3]
	s_delay_alu instid0(VALU_DEP_4) | instskip(NEXT) | instid1(VALU_DEP_2)
	v_add_co_ci_u32_e32 v1, vcc_lo, s15, v1, vcc_lo
	v_add_co_u32 v0, vcc_lo, v0, v2
	s_wait_alu 0xfffd
	s_delay_alu instid0(VALU_DEP_2) | instskip(NEXT) | instid1(VALU_DEP_2)
	v_add_co_ci_u32_e32 v1, vcc_lo, v1, v3, vcc_lo
	v_add_co_u32 v2, vcc_lo, v0, s2
	s_wait_alu 0xfffd
	s_delay_alu instid0(VALU_DEP_2)
	v_add_co_ci_u32_e32 v3, vcc_lo, s3, v1, vcc_lo
	global_load_b64 v[0:1], v[0:1], off
	v_add_co_u32 v4, vcc_lo, v2, s2
	s_wait_alu 0xfffd
	v_add_co_ci_u32_e32 v5, vcc_lo, s3, v3, vcc_lo
	global_load_b64 v[2:3], v[2:3], off
	v_add_co_u32 v6, vcc_lo, v4, s2
	s_wait_alu 0xfffd
	v_add_co_ci_u32_e32 v7, vcc_lo, s3, v5, vcc_lo
	s_delay_alu instid0(VALU_DEP_2) | instskip(SKIP_1) | instid1(VALU_DEP_2)
	v_add_co_u32 v8, vcc_lo, v6, s2
	s_wait_alu 0xfffd
	v_add_co_ci_u32_e32 v9, vcc_lo, s3, v7, vcc_lo
	s_delay_alu instid0(VALU_DEP_2) | instskip(SKIP_1) | instid1(VALU_DEP_2)
	v_add_co_u32 v10, vcc_lo, v8, s2
	s_wait_alu 0xfffd
	v_add_co_ci_u32_e32 v11, vcc_lo, s3, v9, vcc_lo
	s_clause 0x2
	global_load_b64 v[4:5], v[4:5], off
	global_load_b64 v[6:7], v[6:7], off
	;; [unrolled: 1-line block ×3, first 2 shown]
	v_add_co_u32 v12, vcc_lo, v10, s2
	s_wait_alu 0xfffd
	v_add_co_ci_u32_e32 v13, vcc_lo, s3, v11, vcc_lo
	global_load_b64 v[10:11], v[10:11], off
	v_add_co_u32 v14, vcc_lo, v12, s2
	s_wait_alu 0xfffd
	v_add_co_ci_u32_e32 v15, vcc_lo, s3, v13, vcc_lo
	global_load_b64 v[12:13], v[12:13], off
	;; [unrolled: 4-line block ×6, first 2 shown]
	v_add_co_u32 v25, vcc_lo, v23, s2
	s_wait_alu 0xfffd
	v_add_co_ci_u32_e32 v26, vcc_lo, s3, v24, vcc_lo
	global_load_b64 v[89:90], v58, s[8:9] offset:5720
	global_load_b64 v[27:28], v[23:24], off
	global_load_b64 v[91:92], v58, s[8:9] offset:6240
	global_load_b64 v[24:25], v[25:26], off
	v_mul_hi_u32 v23, 0xaaaaaaab, v88
	s_load_b128 s[4:7], s[6:7], 0x0
	v_cmp_gt_u16_e32 vcc_lo, 39, v22
	s_delay_alu instid0(VALU_DEP_2) | instskip(NEXT) | instid1(VALU_DEP_1)
	v_lshrrev_b32_e32 v23, 1, v23
	v_lshl_add_u32 v23, v23, 1, v23
	s_delay_alu instid0(VALU_DEP_1) | instskip(NEXT) | instid1(VALU_DEP_1)
	v_sub_nc_u32_e32 v23, v88, v23
	v_mul_u32_u24_e32 v23, 0x34d, v23
	s_delay_alu instid0(VALU_DEP_1) | instskip(SKIP_3) | instid1(VALU_DEP_2)
	v_lshlrev_b32_e32 v107, 3, v23
	s_wait_loadcnt 0xe
	v_mul_f32_e32 v29, v1, v100
	v_mul_f32_e32 v26, v0, v100
	v_fmac_f32_e32 v29, v0, v99
	s_delay_alu instid0(VALU_DEP_2)
	v_fma_f32 v30, v1, v99, -v26
	s_wait_loadcnt 0xd
	v_mul_f32_e32 v1, v2, v102
	s_wait_loadcnt 0xc
	v_mul_f32_e32 v0, v5, v98
	v_dual_mul_f32 v31, v3, v102 :: v_dual_add_nc_u32 v106, v58, v107
	v_mul_f32_e32 v26, v4, v98
	s_wait_loadcnt 0xb
	s_delay_alu instid0(VALU_DEP_3) | instskip(NEXT) | instid1(VALU_DEP_3)
	v_dual_mul_f32 v33, v6, v94 :: v_dual_fmac_f32 v0, v4, v97
	v_dual_fmac_f32 v31, v2, v101 :: v_dual_mul_f32 v2, v7, v94
	s_wait_loadcnt 0xa
	v_dual_mul_f32 v4, v9, v96 :: v_dual_add_nc_u32 v23, 0x1000, v106
	v_fma_f32 v32, v3, v101, -v1
	v_fma_f32 v1, v5, v97, -v26
	v_fmac_f32_e32 v2, v6, v93
	s_wait_loadcnt 0x9
	v_mul_f32_e32 v6, v11, v83
	v_fma_f32 v3, v7, v93, -v33
	v_mul_f32_e32 v5, v8, v96
	ds_store_2addr_b64 v106, v[29:30], v[31:32] offset1:65
	v_fmac_f32_e32 v4, v8, v95
	v_fmac_f32_e32 v6, v10, v82
	ds_store_2addr_b64 v106, v[0:1], v[2:3] offset0:130 offset1:195
	v_fma_f32 v5, v9, v95, -v5
	s_wait_loadcnt 0x8
	v_dual_mul_f32 v1, v10, v83 :: v_dual_mul_f32 v0, v13, v85
	s_wait_loadcnt 0x7
	v_dual_mul_f32 v3, v12, v85 :: v_dual_mul_f32 v2, v15, v87
	;; [unrolled: 2-line block ×3, first 2 shown]
	v_fma_f32 v7, v11, v82, -v1
	v_fmac_f32_e32 v0, v12, v84
	v_fma_f32 v1, v13, v84, -v3
	v_fmac_f32_e32 v2, v14, v86
	v_fma_f32 v3, v15, v86, -v9
	v_mul_f32_e32 v9, v16, v77
	s_wait_loadcnt 0x5
	v_mul_f32_e32 v10, v19, v81
	s_wait_loadcnt 0x4
	v_dual_mul_f32 v11, v18, v81 :: v_dual_mul_f32 v12, v21, v79
	v_mul_f32_e32 v13, v20, v79
	s_wait_loadcnt 0x2
	v_dual_fmac_f32 v8, v16, v76 :: v_dual_mul_f32 v15, v27, v90
	v_mul_f32_e32 v14, v28, v90
	v_fma_f32 v9, v17, v76, -v9
	s_wait_loadcnt 0x0
	v_mul_f32_e32 v16, v25, v92
	v_dual_mul_f32 v17, v24, v92 :: v_dual_add_nc_u32 v34, 0x800, v106
	v_fmac_f32_e32 v10, v18, v80
	v_fma_f32 v11, v19, v80, -v11
	v_fmac_f32_e32 v12, v20, v78
	v_fma_f32 v13, v21, v78, -v13
	;; [unrolled: 2-line block ×4, first 2 shown]
	ds_store_2addr_b64 v34, v[4:5], v[6:7] offset0:4 offset1:69
	ds_store_2addr_b64 v34, v[0:1], v[2:3] offset0:134 offset1:199
	;; [unrolled: 1-line block ×4, first 2 shown]
	ds_store_b64 v106, v[16:17] offset:6240
	global_wb scope:SCOPE_SE
	s_wait_dscnt 0x0
	s_wait_kmcnt 0x0
	s_barrier_signal -1
	s_barrier_wait -1
	global_inv scope:SCOPE_SE
	ds_load_2addr_b64 v[8:11], v106 offset1:65
	ds_load_b64 v[20:21], v106 offset:6240
	ds_load_2addr_b64 v[16:19], v106 offset0:130 offset1:195
	ds_load_2addr_b64 v[0:3], v23 offset0:138 offset1:203
	;; [unrolled: 1-line block ×5, first 2 shown]
	global_wb scope:SCOPE_SE
	s_wait_dscnt 0x0
	s_barrier_signal -1
	s_barrier_wait -1
	global_inv scope:SCOPE_SE
	v_dual_add_f32 v28, v8, v10 :: v_dual_add_f32 v29, v9, v11
	v_dual_add_f32 v30, v20, v10 :: v_dual_add_f32 v31, v21, v11
	v_dual_sub_f32 v10, v10, v20 :: v_dual_sub_f32 v43, v12, v6
	v_sub_f32_e32 v11, v11, v21
	v_sub_f32_e32 v40, v19, v1
	v_dual_add_f32 v32, v2, v16 :: v_dual_add_f32 v45, v4, v14
	v_add_f32_e32 v33, v3, v17
	v_dual_sub_f32 v35, v16, v2 :: v_dual_sub_f32 v36, v17, v3
	v_add_f32_e32 v49, v26, v24
	v_add_f32_e32 v37, v0, v18
	v_sub_f32_e32 v39, v18, v0
	v_dual_add_f32 v41, v6, v12 :: v_dual_sub_f32 v44, v13, v7
	v_dual_mul_f32 v59, 0xbf6f5d39, v10 :: v_dual_add_f32 v50, v27, v25
	v_dual_mul_f32 v57, 0xbf6f5d39, v11 :: v_dual_add_f32 v16, v28, v16
	v_add_f32_e32 v17, v29, v17
	v_mul_f32_e32 v29, 0xbeedf032, v10
	v_dual_mul_f32 v74, 0x3f6f5d39, v40 :: v_dual_mul_f32 v109, 0x3f6f5d39, v39
	v_dual_add_f32 v42, v7, v13 :: v_dual_mul_f32 v53, 0xbf52af12, v11
	v_dual_sub_f32 v47, v14, v4 :: v_dual_mul_f32 v54, 0xbf52af12, v10
	v_mul_f32_e32 v63, 0xbf52af12, v35
	v_dual_mul_f32 v56, 0xbf7e222b, v10 :: v_dual_mul_f32 v115, 0xbf7e222b, v44
	v_dual_mul_f32 v112, 0xbf6f5d39, v44 :: v_dual_mul_f32 v117, 0xbf6f5d39, v43
	;; [unrolled: 1-line block ×5, first 2 shown]
	v_mul_f32_e32 v44, 0x3f52af12, v44
	v_fma_f32 v140, 0xbeb58ec6, v30, -v57
	v_fmac_f32_e32 v57, 0xbeb58ec6, v30
	v_fma_f32 v156, 0xbeb58ec6, v37, -v74
	v_fmac_f32_e32 v74, 0xbeb58ec6, v37
	v_mul_f32_e32 v120, 0xbf7e222b, v43
	v_mul_f32_e32 v43, 0x3f52af12, v43
	v_add_f32_e32 v57, v8, v57
	v_dual_fmamk_f32 v137, v31, 0x3f116cb1, v54 :: v_dual_add_f32 v38, v1, v19
	s_delay_alu instid0(VALU_DEP_3) | instskip(NEXT) | instid1(VALU_DEP_2)
	v_dual_sub_f32 v51, v24, v26 :: v_dual_fmamk_f32 v174, v42, 0x3f116cb1, v43
	v_dual_mul_f32 v60, 0xbf29c268, v11 :: v_dual_add_f32 v137, v9, v137
	v_dual_add_f32 v46, v5, v15 :: v_dual_mul_f32 v61, 0xbf29c268, v10
	v_dual_sub_f32 v48, v15, v5 :: v_dual_mul_f32 v55, 0xbf7e222b, v11
	v_dual_sub_f32 v52, v25, v27 :: v_dual_mul_f32 v73, 0xbe750f2a, v40
	v_mul_f32_e32 v10, 0xbe750f2a, v10
	v_dual_mul_f32 v62, 0xbf52af12, v36 :: v_dual_mul_f32 v111, 0xbf52af12, v39
	v_dual_mul_f32 v64, 0xbf6f5d39, v36 :: v_dual_mul_f32 v65, 0xbf6f5d39, v35
	v_dual_mul_f32 v72, 0xbf7e222b, v40 :: v_dual_add_f32 v17, v17, v19
	v_dual_mul_f32 v75, 0x3eedf032, v40 :: v_dual_mul_f32 v110, 0x3eedf032, v39
	v_dual_mul_f32 v103, 0xbf52af12, v40 :: v_dual_add_f32 v16, v16, v18
	v_fmamk_f32 v19, v31, 0x3f62ad3f, v29
	v_fma_f32 v29, 0x3f62ad3f, v31, -v29
	v_mul_f32_e32 v28, 0xbeedf032, v11
	v_mul_f32_e32 v11, 0xbe750f2a, v11
	v_fma_f32 v142, 0xbf3f9e67, v30, -v60
	v_dual_mul_f32 v66, 0xbe750f2a, v36 :: v_dual_mul_f32 v67, 0xbe750f2a, v35
	v_dual_mul_f32 v68, 0x3f29c268, v36 :: v_dual_mul_f32 v69, 0x3f29c268, v35
	;; [unrolled: 1-line block ×4, first 2 shown]
	v_mul_f32_e32 v40, 0xbf29c268, v40
	v_dual_mul_f32 v122, 0xbf29c268, v48 :: v_dual_mul_f32 v127, 0xbf29c268, v47
	v_dual_mul_f32 v123, 0x3f7e222b, v48 :: v_dual_mul_f32 v128, 0x3f7e222b, v47
	;; [unrolled: 1-line block ×7, first 2 shown]
	v_fma_f32 v136, 0x3f116cb1, v30, -v53
	v_fmac_f32_e32 v53, 0x3f116cb1, v30
	v_fma_f32 v54, 0x3f116cb1, v31, -v54
	v_fma_f32 v138, 0x3df6dbef, v30, -v55
	v_fmac_f32_e32 v55, 0x3df6dbef, v30
	v_fmamk_f32 v141, v31, 0xbeb58ec6, v59
	v_fma_f32 v59, 0xbeb58ec6, v31, -v59
	v_dual_fmamk_f32 v143, v31, 0xbf3f9e67, v61 :: v_dual_fmac_f32 v60, 0xbf3f9e67, v30
	v_fma_f32 v61, 0xbf3f9e67, v31, -v61
	v_fma_f32 v144, 0xbf788fa5, v30, -v11
	v_fmac_f32_e32 v11, 0xbf788fa5, v30
	v_fmamk_f32 v145, v33, 0x3f116cb1, v63
	v_fma_f32 v146, 0xbeb58ec6, v32, -v64
	v_fmac_f32_e32 v64, 0xbeb58ec6, v32
	v_dual_mul_f32 v108, 0xbe750f2a, v39 :: v_dual_add_f32 v141, v9, v141
	v_fma_f32 v169, 0x3f116cb1, v41, -v44
	v_fmac_f32_e32 v44, 0x3f116cb1, v41
	v_add_f32_e32 v29, v9, v29
	v_fma_f32 v18, 0x3f62ad3f, v30, -v28
	v_fmac_f32_e32 v28, 0x3f62ad3f, v30
	v_fmamk_f32 v139, v31, 0x3df6dbef, v56
	v_fma_f32 v56, 0x3df6dbef, v31, -v56
	v_fmamk_f32 v30, v31, 0xbf788fa5, v10
	v_add_f32_e32 v18, v8, v18
	v_fma_f32 v10, 0xbf788fa5, v31, -v10
	v_fma_f32 v31, 0x3f116cb1, v32, -v62
	v_fmac_f32_e32 v62, 0x3f116cb1, v32
	v_dual_mul_f32 v104, 0xbf7e222b, v39 :: v_dual_add_f32 v53, v8, v53
	v_mul_f32_e32 v39, 0xbf29c268, v39
	v_dual_fmamk_f32 v162, v38, 0x3f62ad3f, v110 :: v_dual_add_f32 v19, v9, v19
	v_dual_add_f32 v142, v8, v142 :: v_dual_add_f32 v13, v17, v13
	v_add_f32_e32 v12, v16, v12
	v_fma_f32 v63, 0x3f116cb1, v33, -v63
	v_fmamk_f32 v147, v33, 0xbeb58ec6, v65
	v_fma_f32 v65, 0xbeb58ec6, v33, -v65
	v_fma_f32 v148, 0xbf788fa5, v32, -v66
	v_dual_fmamk_f32 v149, v33, 0xbf788fa5, v67 :: v_dual_fmac_f32 v66, 0xbf788fa5, v32
	v_fma_f32 v67, 0xbf788fa5, v33, -v67
	v_fma_f32 v150, 0xbf3f9e67, v32, -v68
	v_dual_fmamk_f32 v151, v33, 0xbf3f9e67, v69 :: v_dual_fmac_f32 v68, 0xbf3f9e67, v32
	;; [unrolled: 3-line block ×3, first 2 shown]
	v_fma_f32 v71, 0x3df6dbef, v33, -v71
	v_fma_f32 v154, 0x3f62ad3f, v32, -v36
	v_fmac_f32_e32 v36, 0x3f62ad3f, v32
	v_dual_fmamk_f32 v32, v33, 0x3f62ad3f, v35 :: v_dual_add_f32 v55, v8, v55
	v_fma_f32 v33, 0x3f62ad3f, v33, -v35
	v_fma_f32 v35, 0x3df6dbef, v37, -v72
	v_fmac_f32_e32 v72, 0x3df6dbef, v37
	v_fma_f32 v155, 0xbf788fa5, v37, -v73
	v_dual_fmac_f32 v73, 0xbf788fa5, v37 :: v_dual_fmamk_f32 v160, v38, 0xbf788fa5, v108
	v_fma_f32 v157, 0x3f62ad3f, v37, -v75
	v_fmac_f32_e32 v75, 0x3f62ad3f, v37
	v_fma_f32 v158, 0x3f116cb1, v37, -v103
	v_dual_fmac_f32 v103, 0x3f116cb1, v37 :: v_dual_add_f32 v28, v8, v28
	v_fma_f32 v159, 0xbf3f9e67, v37, -v40
	v_fmac_f32_e32 v40, 0xbf3f9e67, v37
	v_dual_fmamk_f32 v37, v38, 0x3df6dbef, v104 :: v_dual_add_f32 v136, v8, v136
	v_fma_f32 v104, 0x3df6dbef, v38, -v104
	v_fma_f32 v108, 0xbf788fa5, v38, -v108
	v_fmamk_f32 v161, v38, 0xbeb58ec6, v109
	v_fma_f32 v109, 0xbeb58ec6, v38, -v109
	v_fma_f32 v110, 0x3f62ad3f, v38, -v110
	v_fmamk_f32 v163, v38, 0x3f116cb1, v111
	v_fma_f32 v111, 0x3f116cb1, v38, -v111
	v_dual_fmamk_f32 v164, v38, 0xbf3f9e67, v39 :: v_dual_add_f32 v139, v9, v139
	v_fma_f32 v38, 0xbf3f9e67, v38, -v39
	v_fma_f32 v39, 0xbeb58ec6, v41, -v112
	v_fmac_f32_e32 v112, 0xbeb58ec6, v41
	v_fma_f32 v165, 0xbf3f9e67, v41, -v113
	v_dual_fmac_f32 v113, 0xbf3f9e67, v41 :: v_dual_fmamk_f32 v170, v42, 0xbf3f9e67, v118
	v_fma_f32 v166, 0x3f62ad3f, v41, -v114
	v_dual_fmac_f32 v114, 0x3f62ad3f, v41 :: v_dual_fmamk_f32 v171, v42, 0x3f62ad3f, v119
	;; [unrolled: 2-line block ×4, first 2 shown]
	v_dual_fmamk_f32 v41, v42, 0xbeb58ec6, v117 :: v_dual_add_f32 v54, v9, v54
	v_fma_f32 v117, 0xbeb58ec6, v42, -v117
	v_fma_f32 v118, 0xbf3f9e67, v42, -v118
	v_fma_f32 v119, 0x3f62ad3f, v42, -v119
	v_fma_f32 v120, 0x3df6dbef, v42, -v120
	v_fma_f32 v121, 0xbf788fa5, v42, -v121
	v_fma_f32 v42, 0x3f116cb1, v42, -v43
	v_fma_f32 v43, 0xbf3f9e67, v45, -v122
	v_dual_fmac_f32 v122, 0xbf3f9e67, v45 :: v_dual_add_f32 v59, v9, v59
	v_dual_fmamk_f32 v181, v46, 0x3f116cb1, v129 :: v_dual_add_f32 v138, v8, v138
	v_dual_fmamk_f32 v184, v46, 0xbeb58ec6, v47 :: v_dual_add_f32 v143, v9, v143
	;; [unrolled: 1-line block ×3, first 2 shown]
	v_dual_add_f32 v140, v8, v140 :: v_dual_add_f32 v61, v9, v61
	v_add_f32_e32 v60, v8, v60
	v_add_f32_e32 v144, v8, v144
	;; [unrolled: 1-line block ×3, first 2 shown]
	v_dual_add_f32 v8, v8, v11 :: v_dual_add_f32 v17, v146, v136
	v_add_f32_e32 v9, v9, v10
	v_add_f32_e32 v11, v13, v15
	v_dual_add_f32 v13, v145, v19 :: v_dual_add_f32 v10, v12, v14
	v_dual_add_f32 v12, v31, v18 :: v_dual_add_f32 v19, v64, v53
	;; [unrolled: 1-line block ×5, first 2 shown]
	v_add_f32_e32 v30, v149, v139
	v_add_f32_e32 v31, v66, v55
	v_dual_add_f32 v55, v151, v141 :: v_dual_add_f32 v54, v150, v140
	v_dual_add_f32 v56, v68, v57 :: v_dual_add_f32 v63, v154, v144
	;; [unrolled: 1-line block ×4, first 2 shown]
	v_add_f32_e32 v15, v104, v15
	v_fma_f32 v176, 0x3f116cb1, v45, -v124
	v_fmac_f32_e32 v124, 0x3f116cb1, v45
	v_fma_f32 v179, 0xbeb58ec6, v45, -v48
	v_dual_fmac_f32 v48, 0xbeb58ec6, v45 :: v_dual_add_f32 v59, v152, v142
	v_dual_add_f32 v62, v153, v143 :: v_dual_add_f32 v61, v71, v61
	v_dual_add_f32 v60, v70, v60 :: v_dual_add_f32 v9, v33, v9
	;; [unrolled: 1-line block ×3, first 2 shown]
	v_add_f32_e32 v18, v160, v18
	v_add_f32_e32 v24, v108, v28
	v_dual_add_f32 v25, v156, v29 :: v_dual_add_f32 v28, v161, v30
	v_dual_add_f32 v29, v74, v31 :: v_dual_add_f32 v30, v109, v53
	v_add_f32_e32 v33, v75, v56
	v_dual_add_f32 v31, v157, v54 :: v_dual_add_f32 v32, v162, v55
	v_dual_add_f32 v35, v110, v57 :: v_dual_add_f32 v16, v164, v16
	;; [unrolled: 1-line block ×3, first 2 shown]
	v_fma_f32 v175, 0x3df6dbef, v45, -v123
	v_dual_fmac_f32 v123, 0x3df6dbef, v45 :: v_dual_fmamk_f32 v180, v46, 0x3df6dbef, v128
	v_fma_f32 v177, 0xbf788fa5, v45, -v125
	v_dual_fmac_f32 v125, 0xbf788fa5, v45 :: v_dual_fmamk_f32 v182, v46, 0xbf788fa5, v130
	;; [unrolled: 2-line block ×3, first 2 shown]
	v_fmamk_f32 v45, v46, 0xbf3f9e67, v127
	v_fma_f32 v130, 0xbf788fa5, v46, -v130
	v_dual_add_f32 v8, v36, v8 :: v_dual_add_f32 v13, v37, v13
	v_dual_add_f32 v36, v158, v59 :: v_dual_add_f32 v53, v103, v60
	v_add_f32_e32 v37, v163, v62
	s_delay_alu instid0(VALU_DEP_3)
	v_dual_add_f32 v55, v159, v63 :: v_dual_add_f32 v8, v40, v8
	v_dual_add_f32 v25, v166, v25 :: v_dual_add_f32 v26, v171, v28
	;; [unrolled: 1-line block ×9, first 2 shown]
	s_delay_alu instid0(VALU_DEP_4) | instskip(SKIP_2) | instid1(VALU_DEP_4)
	v_dual_add_f32 v39, v130, v32 :: v_dual_add_f32 v4, v4, v6
	v_add_f32_e32 v5, v5, v7
	v_fma_f32 v127, 0xbf3f9e67, v46, -v127
	v_add_f32_e32 v38, v179, v38
	v_dual_add_f32 v54, v111, v61 :: v_dual_add_f32 v15, v117, v15
	v_dual_add_f32 v13, v41, v13 :: v_dual_add_f32 v14, v112, v14
	;; [unrolled: 1-line block ×4, first 2 shown]
	v_dual_mul_f32 v132, 0xbe750f2a, v52 :: v_dual_mul_f32 v133, 0xbe750f2a, v51
	v_fma_f32 v128, 0x3df6dbef, v46, -v128
	v_fma_f32 v129, 0x3f116cb1, v46, -v129
	;; [unrolled: 1-line block ×5, first 2 shown]
	v_dual_add_f32 v19, v113, v19 :: v_dual_add_f32 v24, v118, v24
	v_dual_add_f32 v35, v173, v37 :: v_dual_add_f32 v16, v174, v16
	;; [unrolled: 1-line block ×7, first 2 shown]
	v_add_f32_e32 v3, v5, v3
	v_fmamk_f32 v185, v50, 0xbf788fa5, v133
	v_dual_add_f32 v17, v123, v19 :: v_dual_add_f32 v18, v128, v24
	v_dual_add_f32 v37, v131, v37 :: v_dual_add_f32 v42, v48, v8
	;; [unrolled: 1-line block ×4, first 2 shown]
	v_mul_f32_e32 v8, 0xbf29c268, v52
	v_dual_fmac_f32 v134, 0x3f62ad3f, v49 :: v_dual_add_f32 v3, v187, v15
	v_mul_f32_e32 v7, 0xbf29c268, v51
	v_fma_f32 v47, 0xbf788fa5, v49, -v132
	v_fmac_f32_e32 v132, 0xbf788fa5, v49
	v_dual_add_f32 v19, v176, v25 :: v_dual_add_f32 v24, v181, v26
	v_add_f32_e32 v1, v185, v11
	v_fma_f32 v6, 0x3f62ad3f, v50, -v135
	s_delay_alu instid0(VALU_DEP_4)
	v_add_f32_e32 v32, v132, v12
	v_fma_f32 v9, 0xbf3f9e67, v49, -v8
	v_add_f32_e32 v26, v134, v17
	v_fmamk_f32 v11, v50, 0xbf3f9e67, v7
	v_fma_f32 v133, 0xbf788fa5, v50, -v133
	v_dual_add_f32 v25, v124, v27 :: v_dual_add_f32 v28, v129, v28
	v_dual_add_f32 v41, v184, v16 :: v_dual_add_f32 v0, v47, v10
	v_dual_add_f32 v27, v6, v18 :: v_dual_mul_f32 v10, 0x3f52af12, v52
	v_add_f32_e32 v6, v9, v19
	v_fmac_f32_e32 v8, 0xbf3f9e67, v49
	v_fma_f32 v9, 0xbf3f9e67, v50, -v7
	v_add_f32_e32 v7, v11, v24
	v_mul_f32_e32 v11, 0x3f52af12, v51
	v_dual_add_f32 v29, v177, v29 :: v_dual_add_f32 v30, v182, v30
	v_dual_add_f32 v31, v125, v31 :: v_dual_add_f32 v40, v178, v33
	;; [unrolled: 1-line block ×3, first 2 shown]
	v_fma_f32 v12, 0x3f116cb1, v49, -v10
	v_dual_add_f32 v24, v8, v25 :: v_dual_add_f32 v25, v9, v28
	v_dual_mul_f32 v14, 0xbf6f5d39, v52 :: v_dual_mul_f32 v13, 0xbf6f5d39, v51
	v_dual_fmamk_f32 v9, v50, 0x3f116cb1, v11 :: v_dual_fmac_f32 v10, 0x3f116cb1, v49
	v_fma_f32 v11, 0x3f116cb1, v50, -v11
	v_dual_add_f32 v35, v183, v35 :: v_dual_add_f32 v36, v126, v36
	v_add_f32_e32 v8, v12, v29
	v_fma_f32 v12, 0xbeb58ec6, v49, -v14
	v_fmamk_f32 v15, v50, 0xbeb58ec6, v13
	v_dual_add_f32 v11, v11, v39 :: v_dual_fmac_f32 v14, 0xbeb58ec6, v49
	v_fma_f32 v16, 0xbeb58ec6, v50, -v13
	s_delay_alu instid0(VALU_DEP_3) | instskip(SKIP_1) | instid1(VALU_DEP_3)
	v_dual_add_f32 v12, v12, v40 :: v_dual_add_f32 v13, v15, v35
	v_dual_mul_f32 v18, 0x3f7e222b, v52 :: v_dual_mul_f32 v17, 0x3f7e222b, v51
	v_dual_add_f32 v14, v14, v36 :: v_dual_add_f32 v15, v16, v37
	v_mul_lo_u16 v16, v22, 13
	s_delay_alu instid0(VALU_DEP_3) | instskip(NEXT) | instid1(VALU_DEP_4)
	v_fma_f32 v19, 0x3df6dbef, v49, -v18
	v_fmamk_f32 v20, v50, 0x3df6dbef, v17
	v_fma_f32 v21, 0x3df6dbef, v50, -v17
	v_fmac_f32_e32 v18, 0x3df6dbef, v49
	v_dual_add_f32 v9, v9, v30 :: v_dual_and_b32 v28, 0xffff, v16
	s_delay_alu instid0(VALU_DEP_4) | instskip(SKIP_1) | instid1(VALU_DEP_3)
	v_dual_add_f32 v10, v10, v31 :: v_dual_add_f32 v17, v20, v41
	v_add_f32_e32 v16, v19, v38
	v_lshl_add_u32 v64, v28, 3, v107
	v_dual_add_f32 v19, v21, v43 :: v_dual_add_f32 v18, v18, v42
	ds_store_2addr_b64 v64, v[4:5], v[0:1] offset1:1
	ds_store_2addr_b64 v64, v[2:3], v[6:7] offset0:2 offset1:3
	ds_store_2addr_b64 v64, v[8:9], v[12:13] offset0:4 offset1:5
	;; [unrolled: 1-line block ×5, first 2 shown]
	ds_store_b64 v64, v[32:33] offset:96
	v_add_nc_u32_e32 v0, 0xc00, v106
	global_wb scope:SCOPE_SE
	s_wait_dscnt 0x0
	s_barrier_signal -1
	s_barrier_wait -1
	global_inv scope:SCOPE_SE
	ds_load_2addr_b64 v[28:31], v106 offset1:65
	ds_load_2addr_b64 v[48:51], v106 offset0:169 offset1:234
	ds_load_2addr_b64 v[40:43], v34 offset0:82 offset1:147
	ds_load_2addr_b64 v[36:39], v0 offset0:123 offset1:188
	ds_load_2addr_b64 v[44:47], v23 offset0:164 offset1:229
	v_add_co_u32 v56, s2, s8, v58
	s_wait_alu 0xf1ff
	v_add_co_ci_u32_e64 v57, null, s9, 0, s2
                                        ; implicit-def: $vgpr52
	s_and_saveexec_b32 s2, vcc_lo
	s_cbranch_execz .LBB0_3
; %bb.2:
	v_add_nc_u32_e32 v1, 0x400, v106
	ds_load_2addr_b64 v[32:35], v0 offset0:84 offset1:253
	ds_load_2addr_b64 v[24:27], v1 offset0:2 offset1:171
	ds_load_b64 v[52:53], v106 offset:6448
.LBB0_3:
	s_wait_alu 0xfffe
	s_or_b32 exec_lo, exec_lo, s2
	v_and_b32_e32 v0, 0xff, v105
	v_add_nc_u16 v3, v105, 0x82
	s_delay_alu instid0(VALU_DEP_2) | instskip(NEXT) | instid1(VALU_DEP_1)
	v_mul_lo_u16 v0, 0x4f, v0
	v_lshrrev_b16 v54, 10, v0
	v_add_nc_u16 v0, v105, 0x41
	s_delay_alu instid0(VALU_DEP_2) | instskip(NEXT) | instid1(VALU_DEP_2)
	v_mul_lo_u16 v1, v54, 13
	v_and_b32_e32 v2, 0xff, v0
	s_delay_alu instid0(VALU_DEP_2) | instskip(NEXT) | instid1(VALU_DEP_2)
	v_sub_nc_u16 v1, v105, v1
	v_mul_lo_u16 v2, 0x4f, v2
	s_delay_alu instid0(VALU_DEP_2) | instskip(NEXT) | instid1(VALU_DEP_2)
	v_and_b32_e32 v55, 0xff, v1
	v_lshrrev_b16 v59, 10, v2
	s_delay_alu instid0(VALU_DEP_2)
	v_lshlrev_b32_e32 v2, 5, v55
	global_load_b128 v[12:15], v2, s[10:11] offset:16
	v_and_b32_e32 v4, 0xff, v3
	global_load_b128 v[20:23], v2, s[10:11]
	v_mul_lo_u16 v1, 0x4f, v4
	v_mul_lo_u16 v4, v59, 13
	v_and_b32_e32 v59, 0xffff, v59
	s_delay_alu instid0(VALU_DEP_3) | instskip(NEXT) | instid1(VALU_DEP_3)
	v_lshrrev_b16 v60, 10, v1
	v_sub_nc_u16 v0, v0, v4
	s_delay_alu instid0(VALU_DEP_2) | instskip(NEXT) | instid1(VALU_DEP_2)
	v_mul_lo_u16 v1, v60, 13
	v_and_b32_e32 v61, 0xff, v0
	s_delay_alu instid0(VALU_DEP_2) | instskip(NEXT) | instid1(VALU_DEP_2)
	v_sub_nc_u16 v0, v3, v1
	v_lshlrev_b32_e32 v1, 5, v61
	s_wait_loadcnt_dscnt 0x100
	s_delay_alu instid0(VALU_DEP_2)
	v_dual_mul_f32 v63, v45, v15 :: v_dual_and_b32 v108, 0xff, v0
	v_mul_f32_e32 v66, v44, v15
	global_load_b128 v[16:19], v1, s[10:11]
	v_lshlrev_b32_e32 v0, 5, v108
	v_and_b32_e32 v54, 0xffff, v54
	v_dual_fmac_f32 v66, v45, v14 :: v_dual_and_b32 v109, 0xffff, v60
	s_wait_loadcnt 0x1
	v_mul_f32_e32 v60, v40, v23
	v_mul_f32_e32 v62, v36, v13
	v_mul_u32_u24_e32 v54, 0x41, v54
	v_fma_f32 v63, v44, v14, -v63
	s_wait_loadcnt 0x0
	v_dual_fmac_f32 v60, v41, v22 :: v_dual_mul_f32 v45, v50, v17
	s_clause 0x2
	global_load_b128 v[8:11], v1, s[10:11] offset:16
	global_load_b128 v[4:7], v0, s[10:11]
	global_load_b128 v[0:3], v0, s[10:11] offset:16
	v_add_nc_u32_e32 v54, v54, v55
	v_mul_u32_u24_e32 v55, 0x41, v59
	v_mul_f32_e32 v59, v41, v23
	v_dual_mul_f32 v65, v42, v19 :: v_dual_fmac_f32 v62, v37, v12
	s_delay_alu instid0(VALU_DEP_4) | instskip(NEXT) | instid1(VALU_DEP_4)
	v_lshl_add_u32 v111, v54, 3, v107
	v_add_nc_u32_e32 v54, v55, v61
	v_mul_f32_e32 v55, v48, v21
	v_mul_f32_e32 v61, v37, v13
	;; [unrolled: 1-line block ×3, first 2 shown]
	global_wb scope:SCOPE_SE
	s_wait_loadcnt 0x0
	v_lshl_add_u32 v110, v54, 3, v107
	v_mul_f32_e32 v54, v49, v21
	v_fmac_f32_e32 v55, v49, v20
	v_fma_f32 v49, v40, v22, -v59
	v_mul_f32_e32 v59, v43, v19
	s_barrier_signal -1
	v_fma_f32 v48, v48, v20, -v54
	v_fma_f32 v54, v36, v12, -v61
	s_barrier_wait -1
	v_fma_f32 v42, v42, v18, -v59
	global_inv scope:SCOPE_SE
	v_fmac_f32_e32 v45, v51, v16
	v_fmac_f32_e32 v65, v43, v18
	v_add_f32_e32 v43, v48, v63
	v_mul_f32_e32 v72, v46, v11
	v_dual_mul_f32 v41, v26, v5 :: v_dual_mul_f32 v70, v33, v7
	v_dual_mul_f32 v40, v32, v7 :: v_dual_mul_f32 v37, v34, v1
	v_mul_f32_e32 v71, v35, v1
	v_mul_f32_e32 v61, v39, v9
	v_dual_mul_f32 v68, v38, v9 :: v_dual_mul_f32 v67, v47, v11
	v_mul_f32_e32 v69, v27, v5
	v_fmac_f32_e32 v72, v47, v10
	v_dual_fmac_f32 v41, v27, v4 :: v_dual_fmac_f32 v40, v33, v6
	v_fma_f32 v27, v34, v0, -v71
	v_dual_add_f32 v33, v28, v48 :: v_dual_add_f32 v34, v49, v54
	v_mul_f32_e32 v73, v53, v3
	v_mul_f32_e32 v36, v52, v3
	v_fma_f32 v44, v50, v16, -v44
	v_fma_f32 v50, v38, v8, -v61
	v_fmac_f32_e32 v68, v39, v8
	v_fma_f32 v74, v46, v10, -v67
	v_sub_f32_e32 v67, v60, v62
	v_fma_f32 v38, v26, v4, -v69
	v_fma_f32 v32, v32, v6, -v70
	v_dual_fmac_f32 v37, v35, v0 :: v_dual_fmac_f32 v36, v53, v2
	v_dual_sub_f32 v51, v55, v66 :: v_dual_sub_f32 v46, v49, v48
	v_sub_f32_e32 v35, v48, v49
	v_dual_sub_f32 v47, v54, v63 :: v_dual_sub_f32 v114, v65, v68
	v_dual_sub_f32 v69, v48, v63 :: v_dual_sub_f32 v116, v50, v74
	v_dual_add_f32 v33, v33, v49 :: v_dual_add_f32 v124, v32, v27
	v_fma_f32 v48, -0.5, v34, v28
	v_add_f32_e32 v53, v29, v55
	v_dual_sub_f32 v70, v49, v54 :: v_dual_add_f32 v113, v46, v47
	v_add_f32_e32 v46, v42, v50
	s_delay_alu instid0(VALU_DEP_3)
	v_dual_sub_f32 v39, v63, v54 :: v_dual_add_f32 v34, v53, v60
	v_sub_f32_e32 v47, v44, v42
	v_dual_sub_f32 v103, v74, v50 :: v_dual_sub_f32 v134, v40, v41
	v_dual_sub_f32 v115, v42, v44 :: v_dual_add_f32 v136, v33, v54
	v_add_f32_e32 v117, v31, v45
	v_fmamk_f32 v54, v51, 0x3f737871, v48
	v_fmac_f32_e32 v48, 0xbf737871, v51
	v_fma_f32 v26, v52, v2, -v73
	v_dual_add_f32 v59, v60, v62 :: v_dual_add_f32 v112, v35, v39
	v_dual_sub_f32 v61, v55, v60 :: v_dual_add_f32 v104, v44, v74
	v_dual_sub_f32 v71, v66, v62 :: v_dual_add_f32 v118, v65, v68
	v_add_f32_e32 v73, v55, v66
	v_dual_sub_f32 v55, v60, v55 :: v_dual_sub_f32 v120, v42, v50
	v_fma_f32 v52, -0.5, v43, v28
	v_dual_sub_f32 v123, v68, v72 :: v_dual_fmac_f32 v54, 0x3f167918, v67
	v_add_f32_e32 v139, v47, v103
	v_add_f32_e32 v103, v117, v65
	v_dual_sub_f32 v75, v62, v66 :: v_dual_add_f32 v122, v45, v72
	v_fma_f32 v49, -0.5, v59, v29
	v_dual_add_f32 v43, v30, v44 :: v_dual_sub_f32 v132, v36, v37
	v_dual_sub_f32 v119, v44, v74 :: v_dual_sub_f32 v44, v45, v65
	v_fma_f32 v53, -0.5, v73, v29
	v_dual_fmac_f32 v54, 0x3e9e377a, v112 :: v_dual_add_f32 v137, v34, v62
	v_fma_f32 v62, -0.5, v118, v31
	v_add_f32_e32 v118, v103, v68
	v_fmamk_f32 v59, v67, 0xbf737871, v52
	v_fmac_f32_e32 v52, 0x3f737871, v67
	v_dual_add_f32 v71, v61, v71 :: v_dual_sub_f32 v128, v32, v38
	v_dual_add_f32 v73, v55, v75 :: v_dual_add_f32 v130, v40, v37
	v_dual_sub_f32 v121, v72, v68 :: v_dual_fmamk_f32 v60, v70, 0x3f737871, v53
	s_delay_alu instid0(VALU_DEP_4)
	v_dual_sub_f32 v129, v27, v26 :: v_dual_fmac_f32 v52, 0xbf167918, v51
	v_add_f32_e32 v127, v38, v26
	v_dual_add_f32 v133, v41, v36 :: v_dual_fmamk_f32 v68, v119, 0xbf737871, v62
	v_dual_sub_f32 v75, v45, v72 :: v_dual_sub_f32 v126, v26, v27
	v_dual_sub_f32 v45, v65, v45 :: v_dual_add_f32 v138, v43, v42
	v_dual_sub_f32 v28, v41, v36 :: v_dual_sub_f32 v29, v40, v37
	v_dual_fmac_f32 v48, 0xbf167918, v67 :: v_dual_sub_f32 v125, v38, v32
	v_dual_sub_f32 v35, v38, v26 :: v_dual_fmac_f32 v60, 0xbf167918, v69
	v_dual_sub_f32 v39, v32, v27 :: v_dual_add_f32 v66, v137, v66
	v_fmamk_f32 v55, v69, 0xbf737871, v49
	v_fma_f32 v61, -0.5, v46, v30
	v_dual_fmac_f32 v31, -0.5, v122 :: v_dual_fmac_f32 v48, 0x3e9e377a, v112
	v_fma_f32 v34, -0.5, v124, v24
	v_add_f32_e32 v42, v128, v129
	v_fma_f32 v33, -0.5, v127, v24
	v_dual_add_f32 v115, v115, v116 :: v_dual_add_f32 v116, v44, v121
	v_fma_f32 v44, -0.5, v130, v25
	v_fmac_f32_e32 v49, 0x3f737871, v69
	v_fma_f32 v46, -0.5, v133, v25
	v_fmac_f32_e32 v53, 0xbf737871, v70
	v_fma_f32 v30, -0.5, v104, v30
	v_dual_fmamk_f32 v104, v35, 0x3f737871, v44 :: v_dual_sub_f32 v131, v41, v40
	v_dual_sub_f32 v135, v37, v36 :: v_dual_fmac_f32 v62, 0x3f737871, v119
	v_add_f32_e32 v65, v136, v63
	v_fmac_f32_e32 v55, 0xbf167918, v70
	s_delay_alu instid0(VALU_DEP_4)
	v_dual_fmac_f32 v49, 0x3f167918, v70 :: v_dual_fmac_f32 v104, 0x3f167918, v39
	v_dual_add_f32 v63, v138, v50 :: v_dual_fmamk_f32 v70, v120, 0x3f737871, v31
	v_fmac_f32_e32 v31, 0xbf737871, v120
	v_fmamk_f32 v103, v28, 0xbf737871, v34
	v_fmamk_f32 v50, v29, 0x3f737871, v33
	v_dual_add_f32 v72, v118, v72 :: v_dual_fmac_f32 v59, 0x3f167918, v51
	v_fmamk_f32 v51, v39, 0xbf737871, v46
	v_fmamk_f32 v67, v75, 0x3f737871, v61
	s_delay_alu instid0(VALU_DEP_4)
	v_fmac_f32_e32 v50, 0xbf167918, v28
	v_fmac_f32_e32 v53, 0x3f167918, v69
	v_fmamk_f32 v69, v114, 0xbf737871, v30
	v_dual_fmac_f32 v30, 0x3f737871, v114 :: v_dual_add_f32 v117, v45, v123
	v_dual_fmac_f32 v52, 0x3e9e377a, v113 :: v_dual_add_f32 v47, v125, v126
	;; [unrolled: 1-line block ×3, first 2 shown]
	s_delay_alu instid0(VALU_DEP_3)
	v_fmac_f32_e32 v30, 0xbf167918, v75
	v_dual_add_f32 v45, v134, v135 :: v_dual_fmac_f32 v68, 0xbf167918, v120
	v_fmac_f32_e32 v61, 0xbf737871, v75
	v_fmac_f32_e32 v31, 0x3f167918, v119
	;; [unrolled: 1-line block ×7, first 2 shown]
	v_dual_fmac_f32 v55, 0x3e9e377a, v71 :: v_dual_fmac_f32 v68, 0x3e9e377a, v116
	v_dual_fmac_f32 v53, 0x3e9e377a, v73 :: v_dual_fmac_f32 v50, 0x3e9e377a, v42
	v_fmac_f32_e32 v61, 0xbf167918, v114
	v_fmac_f32_e32 v62, 0x3f167918, v120
	v_dual_fmac_f32 v31, 0x3e9e377a, v117 :: v_dual_fmac_f32 v104, 0x3e9e377a, v43
	v_fmac_f32_e32 v103, 0x3e9e377a, v47
	v_fmac_f32_e32 v51, 0x3e9e377a, v45
	v_dual_fmac_f32 v59, 0x3e9e377a, v113 :: v_dual_fmac_f32 v30, 0x3e9e377a, v115
	v_dual_fmac_f32 v49, 0x3e9e377a, v71 :: v_dual_fmac_f32 v62, 0x3e9e377a, v116
	v_dual_add_f32 v71, v63, v74 :: v_dual_fmac_f32 v70, 0x3e9e377a, v117
	v_fmac_f32_e32 v67, 0x3e9e377a, v139
	v_fmac_f32_e32 v69, 0x3e9e377a, v115
	;; [unrolled: 1-line block ×3, first 2 shown]
	ds_store_2addr_b64 v111, v[65:66], v[54:55] offset1:13
	ds_store_2addr_b64 v111, v[59:60], v[52:53] offset0:26 offset1:39
	ds_store_b64 v111, v[48:49] offset:416
	ds_store_2addr_b64 v110, v[71:72], v[67:68] offset1:13
	ds_store_2addr_b64 v110, v[69:70], v[30:31] offset0:26 offset1:39
	ds_store_b64 v110, v[61:62] offset:416
	s_and_saveexec_b32 s2, vcc_lo
	s_cbranch_execz .LBB0_5
; %bb.4:
	v_dual_mul_f32 v30, 0x3f737871, v28 :: v_dual_mul_f32 v49, 0x3f737871, v35
	v_mul_f32_e32 v48, 0x3f737871, v39
	v_mul_f32_e32 v31, 0x3f167918, v29
	;; [unrolled: 1-line block ×4, first 2 shown]
	v_dual_sub_f32 v44, v44, v49 :: v_dual_mul_f32 v39, 0x3f167918, v39
	v_dual_mul_f32 v35, 0x3f167918, v35 :: v_dual_add_f32 v24, v24, v38
	v_add_f32_e32 v46, v48, v46
	v_mul_f32_e32 v48, 0x3f167918, v28
	v_dual_mul_f32 v28, 0x3e9e377a, v43 :: v_dual_mul_f32 v43, 0x3e9e377a, v45
	v_dual_sub_f32 v39, v44, v39 :: v_dual_add_f32 v30, v34, v30
	s_delay_alu instid0(VALU_DEP_4) | instskip(NEXT) | instid1(VALU_DEP_2)
	v_dual_sub_f32 v35, v46, v35 :: v_dual_mul_f32 v42, 0x3e9e377a, v42
	v_dual_add_f32 v41, v25, v41 :: v_dual_add_f32 v28, v28, v39
	s_delay_alu instid0(VALU_DEP_2) | instskip(SKIP_1) | instid1(VALU_DEP_3)
	v_dual_add_f32 v24, v24, v32 :: v_dual_add_f32 v25, v43, v35
	v_mul_u32_u24_e32 v32, 0x41, v109
	v_add_f32_e32 v35, v41, v40
	s_delay_alu instid0(VALU_DEP_3) | instskip(NEXT) | instid1(VALU_DEP_3)
	v_dual_sub_f32 v29, v33, v29 :: v_dual_add_f32 v24, v24, v27
	v_dual_add_f32 v31, v31, v30 :: v_dual_add_nc_u32 v32, v32, v108
	s_delay_alu instid0(VALU_DEP_2) | instskip(NEXT) | instid1(VALU_DEP_4)
	v_add_f32_e32 v34, v48, v29
	v_add_f32_e32 v33, v35, v37
	s_delay_alu instid0(VALU_DEP_4) | instskip(NEXT) | instid1(VALU_DEP_4)
	v_add_f32_e32 v29, v24, v26
	v_lshl_add_u32 v26, v32, 3, v107
	s_delay_alu instid0(VALU_DEP_4) | instskip(NEXT) | instid1(VALU_DEP_4)
	v_dual_add_f32 v27, v47, v31 :: v_dual_add_f32 v24, v42, v34
	v_add_f32_e32 v30, v33, v36
	ds_store_2addr_b64 v26, v[29:30], v[27:28] offset1:13
	ds_store_2addr_b64 v26, v[24:25], v[50:51] offset0:26 offset1:39
	ds_store_b64 v26, v[103:104] offset:416
.LBB0_5:
	s_wait_alu 0xfffe
	s_or_b32 exec_lo, exec_lo, s2
	v_mad_co_u64_u32 v[28:29], null, 0x60, v105, s[10:11]
	global_wb scope:SCOPE_SE
	s_wait_dscnt 0x0
	s_barrier_signal -1
	s_barrier_wait -1
	global_inv scope:SCOPE_SE
	s_add_nc_u64 s[2:3], s[8:9], 0x1a68
	s_clause 0x5
	global_load_b128 v[44:47], v[28:29], off offset:416
	global_load_b128 v[40:43], v[28:29], off offset:432
	;; [unrolled: 1-line block ×6, first 2 shown]
	ds_load_2addr_b64 v[52:55], v106 offset1:65
	v_add_nc_u32_e32 v65, 0x800, v106
	s_wait_loadcnt_dscnt 0x500
	v_dual_mul_f32 v75, v54, v45 :: v_dual_add_nc_u32 v112, 0x1000, v106
	v_mul_f32_e32 v70, v55, v45
	ds_load_2addr_b64 v[66:69], v106 offset0:130 offset1:195
	ds_load_2addr_b64 v[113:116], v65 offset0:4 offset1:69
	;; [unrolled: 1-line block ×5, first 2 shown]
	ds_load_b64 v[129:130], v106 offset:6240
	v_fma_f32 v142, v54, v44, -v70
	s_wait_loadcnt_dscnt 0x405
	v_dual_mul_f32 v73, v67, v47 :: v_dual_mul_f32 v74, v69, v41
	s_wait_loadcnt_dscnt 0x304
	v_dual_mul_f32 v72, v113, v43 :: v_dual_mul_f32 v71, v115, v33
	;; [unrolled: 2-line block ×4, first 2 shown]
	v_dual_fmac_f32 v75, v55, v44 :: v_dual_fmac_f32 v72, v114, v42
	s_delay_alu instid0(VALU_DEP_3) | instskip(SKIP_1) | instid1(VALU_DEP_4)
	v_fmac_f32_e32 v59, v124, v36
	v_dual_mul_f32 v131, v66, v47 :: v_dual_mul_f32 v132, v68, v41
	v_fmac_f32_e32 v62, v130, v30
	v_mul_f32_e32 v141, v130, v31
	v_dual_mul_f32 v133, v114, v43 :: v_dual_mul_f32 v134, v116, v33
	v_dual_mul_f32 v135, v118, v35 :: v_dual_mul_f32 v136, v120, v25
	;; [unrolled: 1-line block ×5, first 2 shown]
	v_dual_mul_f32 v139, v126, v39 :: v_dual_fmac_f32 v132, v69, v40
	v_fma_f32 v143, v66, v46, -v73
	v_dual_fmac_f32 v71, v116, v32 :: v_dual_fmac_f32 v48, v118, v34
	v_add_f32_e32 v116, v75, v62
	v_fma_f32 v66, v129, v30, -v141
	v_dual_fmac_f32 v131, v67, v46 :: v_dual_add_f32 v114, v53, v75
	v_fma_f32 v144, v68, v40, -v74
	v_fma_f32 v74, v113, v42, -v133
	;; [unrolled: 1-line block ×4, first 2 shown]
	v_dual_fmac_f32 v49, v120, v24 :: v_dual_fmac_f32 v60, v126, v38
	v_fma_f32 v70, v121, v26, -v137
	v_fma_f32 v69, v123, v36, -v138
	;; [unrolled: 1-line block ×4, first 2 shown]
	v_fmac_f32_e32 v61, v128, v28
	s_delay_alu instid0(VALU_DEP_4) | instskip(NEXT) | instid1(VALU_DEP_4)
	v_dual_add_f32 v113, v52, v142 :: v_dual_add_f32 v126, v74, v69
	v_dual_sub_f32 v117, v142, v66 :: v_dual_sub_f32 v124, v144, v68
	v_dual_sub_f32 v75, v75, v62 :: v_dual_sub_f32 v128, v74, v69
	v_fma_f32 v55, v119, v24, -v136
	v_dual_fmac_f32 v63, v122, v26 :: v_dual_add_f32 v118, v143, v67
	v_dual_add_f32 v115, v142, v66 :: v_dual_add_f32 v122, v144, v68
	v_sub_f32_e32 v120, v143, v67
	v_dual_add_f32 v119, v131, v61 :: v_dual_add_f32 v130, v73, v70
	v_dual_sub_f32 v121, v131, v61 :: v_dual_sub_f32 v134, v73, v70
	v_dual_add_f32 v123, v132, v60 :: v_dual_add_f32 v114, v114, v131
	v_dual_sub_f32 v125, v132, v60 :: v_dual_mul_f32 v136, 0xbeedf032, v117
	v_dual_sub_f32 v129, v72, v59 :: v_dual_mul_f32 v140, 0xbf7e222b, v117
	s_delay_alu instid0(VALU_DEP_4) | instskip(NEXT) | instid1(VALU_DEP_4)
	v_dual_add_f32 v113, v113, v143 :: v_dual_mul_f32 v148, 0xbf6f5d39, v121
	v_dual_mul_f32 v131, 0xbeedf032, v75 :: v_dual_add_f32 v114, v114, v132
	s_delay_alu instid0(VALU_DEP_4)
	v_dual_mul_f32 v137, 0xbf52af12, v75 :: v_dual_mul_f32 v164, 0xbf52af12, v125
	v_dual_mul_f32 v139, 0xbf7e222b, v75 :: v_dual_mul_f32 v156, 0xbf7e222b, v125
	;; [unrolled: 1-line block ×3, first 2 shown]
	v_dual_add_f32 v127, v72, v59 :: v_dual_mul_f32 v138, 0xbf52af12, v117
	v_dual_add_f32 v133, v71, v63 :: v_dual_mul_f32 v142, 0xbf6f5d39, v117
	v_dual_sub_f32 v135, v71, v63 :: v_dual_mul_f32 v146, 0xbf52af12, v121
	v_mul_f32_e32 v143, 0xbf29c268, v75
	v_mul_f32_e32 v145, 0xbf29c268, v117
	v_dual_mul_f32 v75, 0xbe750f2a, v75 :: v_dual_mul_f32 v150, 0xbe750f2a, v121
	s_delay_alu instid0(VALU_DEP_4)
	v_dual_mul_f32 v147, 0xbf52af12, v120 :: v_dual_mul_f32 v180, 0xbf52af12, v135
	v_dual_mul_f32 v151, 0xbe750f2a, v120 :: v_dual_mul_f32 v158, 0xbe750f2a, v125
	;; [unrolled: 1-line block ×4, first 2 shown]
	v_mul_f32_e32 v121, 0x3eedf032, v121
	v_dual_mul_f32 v157, 0xbf7e222b, v124 :: v_dual_mul_f32 v172, 0xbf7e222b, v129
	v_dual_add_f32 v113, v113, v144 :: v_dual_fmamk_f32 v144, v116, 0x3f62ad3f, v136
	v_mul_f32_e32 v117, 0xbe750f2a, v117
	v_fma_f32 v132, 0x3f62ad3f, v115, -v131
	v_fma_f32 v136, 0x3f62ad3f, v116, -v136
	s_delay_alu instid0(VALU_DEP_4)
	v_add_f32_e32 v74, v113, v74
	v_fma_f32 v186, 0x3f116cb1, v115, -v137
	v_mul_f32_e32 v149, 0xbf6f5d39, v120
	v_mul_f32_e32 v120, 0x3eedf032, v120
	v_fma_f32 v188, 0x3df6dbef, v115, -v139
	v_fmamk_f32 v189, v116, 0x3df6dbef, v140
	v_fma_f32 v140, 0x3df6dbef, v116, -v140
	v_fma_f32 v190, 0xbeb58ec6, v115, -v141
	v_dual_mul_f32 v160, 0x3f6f5d39, v125 :: v_dual_mul_f32 v161, 0x3f6f5d39, v124
	v_dual_mul_f32 v162, 0x3eedf032, v125 :: v_dual_mul_f32 v163, 0x3eedf032, v124
	v_dual_mul_f32 v125, 0xbf29c268, v125 :: v_dual_add_f32 v72, v114, v72
	v_mul_f32_e32 v167, 0xbf6f5d39, v128
	v_dual_mul_f32 v168, 0x3f29c268, v129 :: v_dual_mul_f32 v169, 0x3f29c268, v128
	v_dual_mul_f32 v170, 0x3eedf032, v129 :: v_dual_mul_f32 v171, 0x3eedf032, v128
	;; [unrolled: 1-line block ×3, first 2 shown]
	v_mul_f32_e32 v129, 0x3f52af12, v129
	v_dual_mul_f32 v177, 0xbf29c268, v134 :: v_dual_add_f32 v114, v53, v144
	v_mul_f32_e32 v181, 0xbf52af12, v134
	v_fmac_f32_e32 v131, 0x3f62ad3f, v115
	v_dual_fmamk_f32 v187, v116, 0x3f116cb1, v138 :: v_dual_add_f32 v140, v53, v140
	v_mul_f32_e32 v159, 0xbe750f2a, v124
	v_fmac_f32_e32 v137, 0x3f116cb1, v115
	v_fma_f32 v138, 0x3f116cb1, v116, -v138
	v_mul_f32_e32 v165, 0xbf52af12, v124
	v_mul_f32_e32 v124, 0xbf29c268, v124
	v_fmac_f32_e32 v139, 0x3df6dbef, v115
	v_fmac_f32_e32 v141, 0xbeb58ec6, v115
	v_fma_f32 v192, 0xbf3f9e67, v115, -v143
	v_fmac_f32_e32 v143, 0xbf3f9e67, v115
	v_fma_f32 v194, 0xbf788fa5, v115, -v75
	v_fmamk_f32 v195, v116, 0xbf788fa5, v117
	v_fmac_f32_e32 v75, 0xbf788fa5, v115
	v_fma_f32 v115, 0xbf788fa5, v116, -v117
	v_fmamk_f32 v117, v119, 0x3f116cb1, v147
	v_fma_f32 v196, 0xbeb58ec6, v118, -v148
	v_fma_f32 v202, 0x3df6dbef, v118, -v154
	v_fmamk_f32 v205, v119, 0x3f62ad3f, v120
	v_add_f32_e32 v113, v52, v132
	v_add_f32_e32 v132, v53, v136
	;; [unrolled: 1-line block ×5, first 2 shown]
	v_fmamk_f32 v191, v116, 0xbeb58ec6, v142
	v_fma_f32 v142, 0xbeb58ec6, v116, -v142
	v_mul_f32_e32 v173, 0xbf7e222b, v128
	v_mul_f32_e32 v128, 0x3f52af12, v128
	;; [unrolled: 1-line block ×3, first 2 shown]
	v_fmamk_f32 v193, v116, 0xbf3f9e67, v145
	v_fma_f32 v145, 0xbf3f9e67, v116, -v145
	v_fma_f32 v116, 0x3f116cb1, v118, -v146
	;; [unrolled: 1-line block ×5, first 2 shown]
	v_fmac_f32_e32 v164, 0x3f116cb1, v122
	v_fmamk_f32 v223, v127, 0xbf788fa5, v175
	v_fmamk_f32 v225, v127, 0x3f116cb1, v128
	v_dual_add_f32 v73, v74, v73 :: v_dual_add_f32 v74, v117, v114
	v_add_f32_e32 v114, v196, v136
	v_dual_mul_f32 v182, 0x3e750f2a, v135 :: v_dual_mul_f32 v183, 0x3e750f2a, v134
	v_fmac_f32_e32 v146, 0x3f116cb1, v118
	v_fma_f32 v147, 0x3f116cb1, v119, -v147
	v_dual_fmamk_f32 v197, v119, 0xbeb58ec6, v149 :: v_dual_fmac_f32 v160, 0xbeb58ec6, v122
	v_fmac_f32_e32 v148, 0xbeb58ec6, v118
	v_fma_f32 v149, 0xbeb58ec6, v119, -v149
	v_fma_f32 v198, 0xbf788fa5, v118, -v150
	v_dual_fmamk_f32 v199, v119, 0xbf788fa5, v151 :: v_dual_fmac_f32 v150, 0xbf788fa5, v118
	v_fma_f32 v151, 0xbf788fa5, v119, -v151
	v_fma_f32 v200, 0xbf3f9e67, v118, -v152
	v_dual_fmamk_f32 v201, v119, 0xbf3f9e67, v153 :: v_dual_fmac_f32 v152, 0xbf3f9e67, v118
	v_fma_f32 v153, 0xbf3f9e67, v119, -v153
	v_dual_fmamk_f32 v203, v119, 0x3df6dbef, v155 :: v_dual_fmac_f32 v154, 0x3df6dbef, v118
	v_fma_f32 v155, 0x3df6dbef, v119, -v155
	v_fma_f32 v204, 0x3f62ad3f, v118, -v121
	v_dual_fmac_f32 v121, 0x3f62ad3f, v118 :: v_dual_add_f32 v190, v52, v192
	v_fma_f32 v118, 0x3f62ad3f, v119, -v120
	v_fma_f32 v119, 0x3df6dbef, v122, -v156
	v_fmamk_f32 v120, v123, 0x3df6dbef, v157
	v_fmac_f32_e32 v156, 0x3df6dbef, v122
	v_fmac_f32_e32 v158, 0xbf788fa5, v122
	v_fma_f32 v210, 0x3f62ad3f, v122, -v162
	v_fmac_f32_e32 v162, 0x3f62ad3f, v122
	v_fma_f32 v214, 0xbf3f9e67, v122, -v125
	v_fmamk_f32 v215, v123, 0xbf3f9e67, v124
	v_fmac_f32_e32 v125, 0xbf3f9e67, v122
	v_fma_f32 v122, 0xbf3f9e67, v123, -v124
	v_fmamk_f32 v124, v127, 0xbeb58ec6, v167
	v_fma_f32 v216, 0xbf3f9e67, v126, -v168
	v_dual_fmamk_f32 v217, v127, 0xbf3f9e67, v169 :: v_dual_add_f32 v192, v52, v194
	v_fmac_f32_e32 v168, 0xbf3f9e67, v126
	v_fmamk_f32 v219, v127, 0x3f62ad3f, v171
	v_add_f32_e32 v131, v52, v131
	v_add_f32_e32 v144, v53, v187
	;; [unrolled: 1-line block ×3, first 2 shown]
	v_dual_add_f32 v141, v52, v141 :: v_dual_add_f32 v114, v206, v114
	v_add_f32_e32 v189, v53, v191
	v_add_f32_e32 v191, v53, v193
	;; [unrolled: 1-line block ×7, first 2 shown]
	v_dual_add_f32 v52, v52, v75 :: v_dual_fmamk_f32 v211, v123, 0x3f62ad3f, v163
	v_fma_f32 v218, 0x3f62ad3f, v126, -v170
	v_fmac_f32_e32 v170, 0x3f62ad3f, v126
	v_fma_f32 v224, 0x3f116cb1, v126, -v129
	v_add_f32_e32 v138, v53, v138
	v_add_f32_e32 v142, v53, v142
	v_dual_add_f32 v145, v53, v145 :: v_dual_add_f32 v74, v120, v74
	v_dual_add_f32 v52, v121, v52 :: v_dual_add_f32 v75, v146, v131
	v_add_f32_e32 v146, v204, v192
	v_dual_add_f32 v72, v119, v72 :: v_dual_fmamk_f32 v231, v133, 0xbf788fa5, v183
	v_add_f32_e32 v136, v150, v139
	v_add_f32_e32 v193, v53, v195
	;; [unrolled: 1-line block ×3, first 2 shown]
	v_dual_add_f32 v115, v197, v144 :: v_dual_add_f32 v144, v203, v191
	v_dual_fmac_f32 v129, 0x3f116cb1, v126 :: v_dual_add_f32 v116, v148, v137
	v_dual_add_f32 v137, v151, v140 :: v_dual_add_f32 v74, v124, v74
	v_add_f32_e32 v140, v152, v141
	v_fma_f32 v220, 0x3df6dbef, v126, -v172
	v_dual_fmamk_f32 v221, v127, 0x3df6dbef, v173 :: v_dual_fmac_f32 v172, 0x3df6dbef, v126
	v_dual_add_f32 v131, v198, v186 :: v_dual_add_f32 v52, v125, v52
	v_add_f32_e32 v120, v160, v136
	v_add_f32_e32 v136, v162, v140
	v_fma_f32 v157, 0x3df6dbef, v123, -v157
	v_fmamk_f32 v207, v123, 0xbf788fa5, v159
	v_fma_f32 v159, 0xbf788fa5, v123, -v159
	v_fmamk_f32 v209, v123, 0xbeb58ec6, v161
	v_fma_f32 v161, 0xbeb58ec6, v123, -v161
	v_fma_f32 v163, 0x3f62ad3f, v123, -v163
	v_fmamk_f32 v213, v123, 0x3f116cb1, v165
	v_fma_f32 v165, 0x3f116cb1, v123, -v165
	v_fma_f32 v123, 0xbeb58ec6, v126, -v166
	v_fmac_f32_e32 v166, 0xbeb58ec6, v126
	v_fma_f32 v167, 0xbeb58ec6, v127, -v167
	v_fma_f32 v169, 0xbf3f9e67, v127, -v169
	;; [unrolled: 1-line block ×5, first 2 shown]
	v_fmac_f32_e32 v174, 0xbf788fa5, v126
	v_fma_f32 v175, 0xbf788fa5, v127, -v175
	v_fma_f32 v126, 0x3f116cb1, v127, -v128
	;; [unrolled: 1-line block ×3, first 2 shown]
	v_fmac_f32_e32 v176, 0xbf3f9e67, v130
	v_dual_add_f32 v117, v149, v138 :: v_dual_add_f32 v72, v123, v72
	v_dual_add_f32 v138, v200, v188 :: v_dual_fmamk_f32 v229, v133, 0x3f116cb1, v181
	v_dual_add_f32 v139, v201, v189 :: v_dual_add_f32 v114, v216, v114
	v_add_f32_e32 v53, v118, v53
	v_add_f32_e32 v116, v158, v116
	v_dual_add_f32 v143, v154, v143 :: v_dual_add_f32 v124, v172, v136
	v_add_f32_e32 v113, v147, v132
	v_add_f32_e32 v132, v199, v187
	;; [unrolled: 1-line block ×3, first 2 shown]
	s_delay_alu instid0(VALU_DEP_4) | instskip(SKIP_2) | instid1(VALU_DEP_4)
	v_add_f32_e32 v140, v164, v143
	v_fma_f32 v228, 0x3f116cb1, v130, -v180
	v_dual_fmac_f32 v180, 0x3f116cb1, v130 :: v_dual_add_f32 v145, v155, v145
	v_dual_add_f32 v118, v218, v118 :: v_dual_add_f32 v119, v209, v132
	v_dual_add_f32 v132, v211, v139 :: v_dual_add_f32 v139, v213, v144
	v_add_f32_e32 v73, v73, v54
	v_fmamk_f32 v128, v133, 0xbf3f9e67, v177
	v_dual_add_f32 v141, v153, v142 :: v_dual_add_f32 v116, v168, v116
	s_delay_alu instid0(VALU_DEP_4) | instskip(NEXT) | instid1(VALU_DEP_4)
	v_dual_add_f32 v123, v221, v132 :: v_dual_add_f32 v132, v223, v139
	v_dual_add_f32 v73, v73, v55 :: v_dual_add_f32 v142, v202, v190
	v_add_f32_e32 v113, v157, v113
	v_add_f32_e32 v117, v159, v117
	;; [unrolled: 1-line block ×3, first 2 shown]
	s_delay_alu instid0(VALU_DEP_4)
	v_add_f32_e32 v52, v73, v70
	v_dual_mul_f32 v178, 0x3f7e222b, v135 :: v_dual_mul_f32 v179, 0x3f7e222b, v134
	v_dual_mul_f32 v184, 0x3eedf032, v135 :: v_dual_mul_f32 v185, 0x3eedf032, v134
	v_fma_f32 v177, 0xbf3f9e67, v133, -v177
	v_dual_add_f32 v70, v128, v74 :: v_dual_add_f32 v113, v167, v113
	v_add_f32_e32 v131, v210, v138
	v_add_f32_e32 v138, v212, v142
	v_dual_add_f32 v142, v214, v146 :: v_dual_add_f32 v71, v71, v48
	v_add_f32_e32 v52, v52, v69
	v_fma_f32 v226, 0x3df6dbef, v130, -v178
	v_dual_fmamk_f32 v227, v133, 0x3df6dbef, v179 :: v_dual_fmac_f32 v178, 0x3df6dbef, v130
	v_fma_f32 v230, 0xbf788fa5, v130, -v182
	v_dual_fmac_f32 v182, 0xbf788fa5, v130 :: v_dual_add_f32 v121, v161, v137
	v_dual_add_f32 v137, v163, v141 :: v_dual_add_f32 v52, v52, v68
	v_dual_add_f32 v53, v122, v53 :: v_dual_add_f32 v122, v220, v131
	v_add_f32_e32 v131, v222, v138
	v_dual_add_f32 v138, v224, v142 :: v_dual_add_f32 v71, v71, v49
	s_delay_alu instid0(VALU_DEP_4)
	v_dual_add_f32 v125, v173, v137 :: v_dual_sub_f32 v128, v54, v55
	v_add_f32_e32 v68, v228, v118
	v_add_f32_e32 v52, v52, v67
	v_dual_add_f32 v115, v207, v115 :: v_dual_add_f32 v126, v126, v53
	v_dual_add_f32 v118, v182, v124 :: v_dual_add_f32 v53, v71, v63
	;; [unrolled: 1-line block ×3, first 2 shown]
	v_add_f32_e32 v141, v165, v145
	v_add_f32_e32 v73, v226, v114
	s_delay_alu instid0(VALU_DEP_4) | instskip(SKIP_2) | instid1(VALU_DEP_3)
	v_add_f32_e32 v53, v53, v59
	v_dual_add_f32 v75, v156, v75 :: v_dual_add_f32 v136, v174, v140
	v_dual_add_f32 v114, v180, v120 :: v_dual_add_f32 v115, v217, v115
	v_add_f32_e32 v53, v53, v60
	v_add_f32_e32 v63, v127, v72
	v_fma_f32 v59, 0x3f62ad3f, v130, -v184
	v_add_f32_e32 v127, v54, v55
	v_fma_f32 v179, 0x3df6dbef, v133, -v179
	v_add_f32_e32 v53, v53, v61
	v_dual_add_f32 v75, v166, v75 :: v_dual_fmamk_f32 v60, v133, 0x3f62ad3f, v185
	v_dual_add_f32 v117, v169, v117 :: v_dual_add_f32 v120, v59, v131
	s_delay_alu instid0(VALU_DEP_3) | instskip(SKIP_4) | instid1(VALU_DEP_4)
	v_add_f32_e32 v53, v53, v62
	v_mul_f32_e32 v62, 0xbf6f5d39, v134
	v_fma_f32 v59, 0x3f62ad3f, v133, -v185
	v_fma_f32 v181, 0x3f116cb1, v133, -v181
	v_dual_add_f32 v74, v178, v116 :: v_dual_mul_f32 v61, 0xbf6f5d39, v135
	v_fma_f32 v54, 0xbeb58ec6, v133, -v62
	v_add_f32_e32 v137, v175, v141
	v_dual_add_f32 v143, v215, v147 :: v_dual_add_f32 v116, v230, v122
	s_delay_alu instid0(VALU_DEP_3) | instskip(NEXT) | instid1(VALU_DEP_3)
	v_dual_add_f32 v69, v227, v115 :: v_dual_add_f32 v126, v54, v126
	v_dual_add_f32 v124, v59, v137 :: v_dual_fmamk_f32 v59, v133, 0xbeb58ec6, v62
	v_dual_mul_f32 v62, 0x3eedf032, v128 :: v_dual_add_f32 v71, v176, v75
	v_add_f32_e32 v75, v179, v117
	v_add_f32_e32 v117, v231, v123
	v_sub_f32_e32 v123, v48, v49
	v_dual_add_f32 v121, v171, v121 :: v_dual_fmac_f32 v184, 0x3f62ad3f, v130
	v_add_f32_e32 v72, v177, v113
	v_fma_f32 v183, 0xbf788fa5, v133, -v183
	v_add_f32_e32 v119, v219, v119
	s_delay_alu instid0(VALU_DEP_4)
	v_add_f32_e32 v115, v181, v121
	v_add_f32_e32 v121, v60, v132
	v_fma_f32 v60, 0xbeb58ec6, v130, -v61
	v_dual_fmac_f32 v61, 0xbeb58ec6, v130 :: v_dual_add_f32 v130, v48, v49
	v_mul_f32_e32 v49, 0xbe750f2a, v128
	v_dual_add_f32 v139, v225, v143 :: v_dual_add_f32 v122, v184, v136
	v_mul_f32_e32 v67, 0xbf29c268, v128
	v_add_f32_e32 v113, v229, v119
	s_delay_alu instid0(VALU_DEP_4) | instskip(SKIP_2) | instid1(VALU_DEP_3)
	v_fma_f32 v55, 0xbf788fa5, v130, -v49
	v_fmamk_f32 v54, v130, 0xbf788fa5, v49
	v_dual_add_f32 v52, v52, v66 :: v_dual_add_f32 v131, v59, v139
	v_dual_add_f32 v55, v55, v72 :: v_dual_mul_f32 v72, 0x3f52af12, v123
	s_delay_alu instid0(VALU_DEP_3) | instskip(NEXT) | instid1(VALU_DEP_2)
	v_add_f32_e32 v49, v54, v70
	v_fma_f32 v70, 0x3f116cb1, v127, -v72
	v_dual_fmac_f32 v72, 0x3f116cb1, v127 :: v_dual_add_f32 v119, v183, v125
	v_dual_add_f32 v125, v60, v138 :: v_dual_mul_f32 v60, 0xbe750f2a, v123
	s_delay_alu instid0(VALU_DEP_3) | instskip(NEXT) | instid1(VALU_DEP_3)
	v_add_f32_e32 v70, v70, v116
	v_add_f32_e32 v72, v72, v118
	s_delay_alu instid0(VALU_DEP_3) | instskip(SKIP_1) | instid1(VALU_DEP_2)
	v_fma_f32 v48, 0xbf788fa5, v127, -v60
	v_fmac_f32_e32 v60, 0xbf788fa5, v127
	v_add_f32_e32 v48, v48, v63
	v_mul_f32_e32 v63, 0xbf29c268, v123
	s_delay_alu instid0(VALU_DEP_3) | instskip(SKIP_2) | instid1(VALU_DEP_4)
	v_add_f32_e32 v54, v60, v71
	v_dual_fmamk_f32 v60, v130, 0x3f62ad3f, v62 :: v_dual_add_f32 v129, v61, v129
	v_mul_f32_e32 v71, 0x3f52af12, v128
	v_fma_f32 v66, 0xbf3f9e67, v127, -v63
	v_fmac_f32_e32 v63, 0xbf3f9e67, v127
	v_fma_f32 v62, 0x3f62ad3f, v130, -v62
	s_delay_alu instid0(VALU_DEP_3) | instskip(SKIP_4) | instid1(VALU_DEP_3)
	v_add_f32_e32 v66, v66, v68
	v_add_f32_e32 v60, v60, v69
	v_fma_f32 v69, 0xbf3f9e67, v130, -v67
	v_fmamk_f32 v68, v130, 0xbf3f9e67, v67
	v_add_f32_e32 v62, v62, v75
	v_add_f32_e32 v69, v69, v115
	v_mul_f32_e32 v115, 0x3f7e222b, v128
	s_delay_alu instid0(VALU_DEP_4) | instskip(SKIP_2) | instid1(VALU_DEP_4)
	v_dual_add_f32 v67, v68, v113 :: v_dual_add_f32 v68, v63, v114
	v_fmamk_f32 v63, v130, 0x3f116cb1, v71
	v_mul_f32_e32 v114, 0xbf6f5d39, v128
	v_fma_f32 v118, 0x3df6dbef, v130, -v115
	v_fmamk_f32 v116, v130, 0x3df6dbef, v115
	s_delay_alu instid0(VALU_DEP_3) | instskip(NEXT) | instid1(VALU_DEP_3)
	v_fmamk_f32 v75, v130, 0xbeb58ec6, v114
	v_dual_add_f32 v118, v118, v126 :: v_dual_mul_f32 v61, 0x3eedf032, v123
	v_mul_f32_e32 v113, 0xbf6f5d39, v123
	v_fma_f32 v114, 0xbeb58ec6, v130, -v114
	s_delay_alu instid0(VALU_DEP_4) | instskip(NEXT) | instid1(VALU_DEP_4)
	v_dual_add_f32 v75, v75, v121 :: v_dual_add_f32 v116, v116, v131
	v_fma_f32 v59, 0x3f62ad3f, v127, -v61
	s_delay_alu instid0(VALU_DEP_3) | instskip(NEXT) | instid1(VALU_DEP_2)
	v_dual_fmac_f32 v61, 0x3f62ad3f, v127 :: v_dual_add_f32 v114, v114, v124
	v_add_f32_e32 v59, v59, v73
	v_fma_f32 v73, 0x3f116cb1, v130, -v71
	v_add_f32_e32 v71, v63, v117
	v_fma_f32 v63, 0xbeb58ec6, v127, -v113
	v_mul_f32_e32 v117, 0x3f7e222b, v123
	v_add_f32_e32 v61, v61, v74
	v_fmac_f32_e32 v113, 0xbeb58ec6, v127
	s_delay_alu instid0(VALU_DEP_4) | instskip(NEXT) | instid1(VALU_DEP_4)
	v_dual_add_f32 v73, v73, v119 :: v_dual_add_f32 v74, v63, v120
	v_fma_f32 v63, 0x3df6dbef, v127, -v117
	v_fmac_f32_e32 v117, 0x3df6dbef, v127
	s_delay_alu instid0(VALU_DEP_4) | instskip(NEXT) | instid1(VALU_DEP_3)
	v_add_f32_e32 v113, v113, v122
	v_add_f32_e32 v115, v63, v125
	s_delay_alu instid0(VALU_DEP_3)
	v_add_f32_e32 v117, v117, v129
	ds_store_2addr_b64 v106, v[52:53], v[48:49] offset1:65
	ds_store_2addr_b64 v106, v[59:60], v[66:67] offset0:130 offset1:195
	ds_store_2addr_b64 v65, v[70:71], v[74:75] offset0:4 offset1:69
	;; [unrolled: 1-line block ×5, first 2 shown]
	ds_store_b64 v106, v[54:55] offset:6240
	global_wb scope:SCOPE_SE
	s_wait_dscnt 0x0
	s_barrier_signal -1
	s_barrier_wait -1
	global_inv scope:SCOPE_SE
	s_clause 0xc
	global_load_b64 v[48:49], v[56:57], off offset:6760
	global_load_b64 v[74:75], v58, s[2:3] offset:520
	global_load_b64 v[117:118], v58, s[2:3] offset:1040
	;; [unrolled: 1-line block ×12, first 2 shown]
	ds_load_2addr_b64 v[52:55], v106 offset1:65
	ds_load_2addr_b64 v[56:59], v106 offset0:130 offset1:195
	ds_load_2addr_b64 v[60:63], v65 offset0:4 offset1:69
	;; [unrolled: 1-line block ×5, first 2 shown]
	ds_load_b64 v[139:140], v106 offset:6240
	s_wait_loadcnt_dscnt 0xc06
	v_mul_f32_e32 v141, v53, v49
	s_wait_loadcnt 0xb
	v_dual_mul_f32 v142, v52, v49 :: v_dual_mul_f32 v143, v55, v75
	s_wait_loadcnt_dscnt 0xa05
	v_dual_mul_f32 v49, v54, v75 :: v_dual_mul_f32 v144, v57, v118
	v_mul_f32_e32 v75, v56, v118
	s_wait_loadcnt 0x9
	v_mul_f32_e32 v145, v59, v120
	v_mul_f32_e32 v118, v58, v120
	s_wait_loadcnt_dscnt 0x804
	v_mul_f32_e32 v146, v61, v122
	s_wait_loadcnt 0x7
	v_dual_mul_f32 v120, v60, v122 :: v_dual_mul_f32 v147, v63, v124
	v_mul_f32_e32 v122, v62, v124
	s_wait_loadcnt_dscnt 0x603
	v_mul_f32_e32 v148, v67, v126
	s_wait_loadcnt 0x5
	v_dual_mul_f32 v124, v66, v126 :: v_dual_mul_f32 v149, v69, v128
	;; [unrolled: 5-line block ×4, first 2 shown]
	v_mul_f32_e32 v134, v115, v136
	s_wait_loadcnt_dscnt 0x0
	v_mul_f32_e32 v154, v140, v138
	v_mul_f32_e32 v136, v139, v138
	v_fma_f32 v141, v52, v48, -v141
	v_fmac_f32_e32 v142, v53, v48
	v_fma_f32 v48, v54, v74, -v143
	v_fmac_f32_e32 v49, v55, v74
	;; [unrolled: 2-line block ×13, first 2 shown]
	ds_store_2addr_b64 v106, v[141:142], v[48:49] offset1:65
	ds_store_2addr_b64 v106, v[74:75], v[117:118] offset0:130 offset1:195
	ds_store_2addr_b64 v65, v[119:120], v[121:122] offset0:4 offset1:69
	;; [unrolled: 1-line block ×5, first 2 shown]
	ds_store_b64 v106, v[135:136] offset:6240
	global_wb scope:SCOPE_SE
	s_wait_dscnt 0x0
	s_barrier_signal -1
	s_barrier_wait -1
	global_inv scope:SCOPE_SE
	ds_load_2addr_b64 v[66:69], v106 offset1:65
	ds_load_b64 v[48:49], v106 offset:6240
	ds_load_2addr_b64 v[70:73], v106 offset0:130 offset1:195
	ds_load_2addr_b64 v[113:116], v112 offset0:138 offset1:203
	;; [unrolled: 1-line block ×5, first 2 shown]
	global_wb scope:SCOPE_SE
	s_wait_dscnt 0x0
	s_barrier_signal -1
	s_barrier_wait -1
	global_inv scope:SCOPE_SE
	v_add_f32_e32 v74, v66, v68
	v_add_f32_e32 v118, v49, v69
	v_dual_add_f32 v75, v67, v69 :: v_dual_add_f32 v120, v116, v71
	v_sub_f32_e32 v122, v71, v116
	v_add_f32_e32 v124, v114, v73
	s_delay_alu instid0(VALU_DEP_3) | instskip(NEXT) | instid1(VALU_DEP_4)
	v_dual_mul_f32 v134, 0x3df6dbef, v118 :: v_dual_add_f32 v71, v75, v71
	v_mul_f32_e32 v148, 0x3df6dbef, v120
	v_dual_add_f32 v117, v48, v68 :: v_dual_mul_f32 v136, 0xbeb58ec6, v118
	v_dual_sub_f32 v68, v68, v48 :: v_dual_sub_f32 v69, v69, v49
	v_mul_f32_e32 v138, 0xbf3f9e67, v118
	v_sub_f32_e32 v126, v73, v114
	v_mul_f32_e32 v132, 0x3f116cb1, v118
	v_dual_mul_f32 v150, 0x3df6dbef, v124 :: v_dual_add_f32 v71, v71, v73
	v_dual_add_f32 v119, v115, v70 :: v_dual_mul_f32 v142, 0xbeb58ec6, v120
	v_sub_f32_e32 v121, v70, v115
	v_add_f32_e32 v123, v113, v72
	v_dual_sub_f32 v125, v72, v113 :: v_dual_mul_f32 v144, 0xbf788fa5, v120
	v_dual_add_f32 v128, v63, v57 :: v_dual_sub_f32 v129, v56, v62
	v_mul_f32_e32 v146, 0xbf3f9e67, v120
	v_sub_f32_e32 v130, v57, v63
	v_add_f32_e32 v70, v74, v70
	v_mul_f32_e32 v74, 0xbeedf032, v69
	v_mul_f32_e32 v75, 0x3f62ad3f, v118
	v_mul_f32_e32 v131, 0xbf52af12, v69
	v_mul_f32_e32 v135, 0xbf6f5d39, v69
	v_mul_f32_e32 v118, 0xbf788fa5, v118
	v_mul_f32_e32 v139, 0xbf52af12, v122
	v_mul_f32_e32 v140, 0x3f116cb1, v120
	v_mul_f32_e32 v141, 0xbf6f5d39, v122
	v_mul_f32_e32 v143, 0xbe750f2a, v122
	v_dual_mul_f32 v145, 0x3f29c268, v122 :: v_dual_fmamk_f32 v168, v68, 0x3f29c268, v138
	v_dual_mul_f32 v147, 0x3f7e222b, v122 :: v_dual_fmamk_f32 v164, v68, 0x3f7e222b, v134
	v_mul_f32_e32 v122, 0x3eedf032, v122
	v_mul_f32_e32 v120, 0x3f62ad3f, v120
	v_dual_mul_f32 v153, 0x3f6f5d39, v126 :: v_dual_fmamk_f32 v166, v68, 0x3f6f5d39, v136
	v_dual_fmamk_f32 v162, v68, 0x3f52af12, v132 :: v_dual_add_f32 v57, v71, v57
	v_fmac_f32_e32 v136, 0xbf6f5d39, v68
	v_dual_mul_f32 v154, 0xbeb58ec6, v124 :: v_dual_fmamk_f32 v165, v117, 0xbeb58ec6, v135
	v_dual_mul_f32 v133, 0xbf7e222b, v69 :: v_dual_fmac_f32 v134, 0xbf7e222b, v68
	v_dual_mul_f32 v137, 0xbf29c268, v69 :: v_dual_fmac_f32 v138, 0xbf29c268, v68
	v_mul_f32_e32 v69, 0xbe750f2a, v69
	v_mul_f32_e32 v155, 0x3eedf032, v126
	v_dual_mul_f32 v156, 0x3f62ad3f, v124 :: v_dual_fmamk_f32 v179, v119, 0x3f62ad3f, v122
	v_dual_mul_f32 v159, 0xbf6f5d39, v130 :: v_dual_fmamk_f32 v184, v125, 0xbf6f5d39, v154
	v_add_f32_e32 v70, v70, v72
	v_dual_mul_f32 v158, 0x3f116cb1, v124 :: v_dual_fmamk_f32 v161, v117, 0x3f116cb1, v131
	v_fmamk_f32 v73, v68, 0x3eedf032, v75
	v_dual_fmac_f32 v75, 0xbeedf032, v68 :: v_dual_fmamk_f32 v180, v121, 0xbeedf032, v120
	v_fma_f32 v135, 0xbeb58ec6, v117, -v135
	v_fmac_f32_e32 v120, 0x3eedf032, v121
	v_dual_fmamk_f32 v72, v117, 0x3f62ad3f, v74 :: v_dual_fmamk_f32 v185, v123, 0x3f62ad3f, v155
	v_fma_f32 v74, 0x3f62ad3f, v117, -v74
	v_dual_fmac_f32 v154, 0x3f6f5d39, v125 :: v_dual_add_f32 v57, v57, v59
	v_add_f32_e32 v127, v62, v56
	v_dual_mul_f32 v149, 0xbf7e222b, v126 :: v_dual_fmamk_f32 v178, v121, 0xbf7e222b, v148
	v_mul_f32_e32 v157, 0xbf52af12, v126
	v_fma_f32 v131, 0x3f116cb1, v117, -v131
	v_fmac_f32_e32 v132, 0xbf52af12, v68
	v_dual_fmamk_f32 v163, v117, 0x3df6dbef, v133 :: v_dual_add_f32 v56, v70, v56
	v_fma_f32 v133, 0x3df6dbef, v117, -v133
	v_fmamk_f32 v167, v117, 0xbf3f9e67, v137
	v_fma_f32 v137, 0xbf3f9e67, v117, -v137
	v_fmamk_f32 v172, v121, 0x3f6f5d39, v142
	v_fmac_f32_e32 v142, 0xbf6f5d39, v121
	v_dual_mul_f32 v160, 0xbeb58ec6, v128 :: v_dual_fmamk_f32 v171, v119, 0xbeb58ec6, v141
	v_fmamk_f32 v174, v121, 0x3e750f2a, v144
	v_fmac_f32_e32 v144, 0xbe750f2a, v121
	v_fmamk_f32 v173, v119, 0xbf788fa5, v143
	v_fmamk_f32 v175, v119, 0xbf3f9e67, v145
	;; [unrolled: 1-line block ×3, first 2 shown]
	v_fma_f32 v145, 0xbf3f9e67, v119, -v145
	v_dual_fmac_f32 v146, 0x3f29c268, v121 :: v_dual_add_f32 v135, v66, v135
	v_dual_fmamk_f32 v186, v125, 0xbeedf032, v156 :: v_dual_add_f32 v137, v66, v137
	v_fmac_f32_e32 v156, 0x3eedf032, v125
	v_dual_fmamk_f32 v170, v68, 0x3e750f2a, v118 :: v_dual_add_f32 v71, v67, v73
	v_fmac_f32_e32 v118, 0xbe750f2a, v68
	v_dual_mul_f32 v152, 0xbf788fa5, v124 :: v_dual_fmamk_f32 v169, v117, 0xbf788fa5, v69
	v_mul_f32_e32 v151, 0xbe750f2a, v126
	v_mul_f32_e32 v124, 0xbf3f9e67, v124
	v_fma_f32 v69, 0xbf788fa5, v117, -v69
	v_dual_fmamk_f32 v68, v119, 0x3f116cb1, v139 :: v_dual_add_f32 v131, v66, v131
	v_dual_fmamk_f32 v117, v121, 0x3f52af12, v140 :: v_dual_add_f32 v70, v66, v72
	v_fma_f32 v139, 0x3f116cb1, v119, -v139
	v_fmac_f32_e32 v140, 0xbf52af12, v121
	v_dual_add_f32 v72, v66, v74 :: v_dual_add_f32 v73, v67, v75
	v_dual_add_f32 v74, v66, v161 :: v_dual_add_f32 v75, v67, v162
	;; [unrolled: 1-line block ×4, first 2 shown]
	v_fma_f32 v141, 0xbeb58ec6, v119, -v141
	v_fma_f32 v143, 0xbf788fa5, v119, -v143
	v_fmamk_f32 v177, v119, 0x3df6dbef, v147
	v_fma_f32 v147, 0x3df6dbef, v119, -v147
	v_fmac_f32_e32 v148, 0x3f7e222b, v121
	v_fma_f32 v119, 0x3f62ad3f, v119, -v122
	v_dual_fmamk_f32 v121, v123, 0x3df6dbef, v149 :: v_dual_add_f32 v56, v56, v58
	v_dual_fmamk_f32 v122, v125, 0x3f7e222b, v150 :: v_dual_add_f32 v133, v66, v133
	v_fmac_f32_e32 v150, 0xbf7e222b, v125
	v_fmamk_f32 v182, v125, 0x3e750f2a, v152
	v_fmac_f32_e32 v152, 0xbe750f2a, v125
	v_dual_fmamk_f32 v181, v123, 0xbf788fa5, v151 :: v_dual_add_f32 v68, v68, v70
	v_fmamk_f32 v187, v123, 0x3f116cb1, v157
	v_fmamk_f32 v188, v125, 0x3f52af12, v158
	v_fmac_f32_e32 v158, 0xbf52af12, v125
	v_fmamk_f32 v190, v125, 0x3f29c268, v124
	v_dual_fmac_f32 v124, 0xbf29c268, v125 :: v_dual_add_f32 v161, v66, v163
	v_dual_add_f32 v132, v67, v132 :: v_dual_add_f32 v163, v66, v165
	v_dual_add_f32 v164, v67, v166 :: v_dual_add_f32 v165, v66, v167
	v_add_f32_e32 v167, v66, v169
	v_add_f32_e32 v66, v66, v69
	v_dual_add_f32 v134, v67, v134 :: v_dual_add_f32 v69, v117, v71
	v_add_f32_e32 v166, v67, v168
	v_dual_add_f32 v70, v139, v72 :: v_dual_add_f32 v71, v140, v73
	;; [unrolled: 2-line block ×3, first 2 shown]
	v_dual_add_f32 v73, v172, v75 :: v_dual_add_f32 v168, v67, v170
	v_add_f32_e32 v67, v67, v118
	v_dual_add_f32 v118, v174, v162 :: v_dual_fmamk_f32 v183, v123, 0xbeb58ec6, v153
	v_add_f32_e32 v74, v141, v131
	v_dual_add_f32 v117, v173, v161 :: v_dual_add_f32 v56, v56, v52
	s_delay_alu instid0(VALU_DEP_3) | instskip(NEXT) | instid1(VALU_DEP_2)
	v_dual_add_f32 v118, v184, v118 :: v_dual_add_f32 v57, v57, v61
	v_dual_mul_f32 v126, 0xbf29c268, v126 :: v_dual_add_f32 v117, v183, v117
	s_delay_alu instid0(VALU_DEP_3) | instskip(SKIP_1) | instid1(VALU_DEP_4)
	v_add_f32_e32 v56, v56, v54
	v_fma_f32 v149, 0x3df6dbef, v123, -v149
	v_add_f32_e32 v57, v57, v63
	v_fma_f32 v151, 0xbf788fa5, v123, -v151
	v_fma_f32 v153, 0xbeb58ec6, v123, -v153
	;; [unrolled: 1-line block ×4, first 2 shown]
	v_add_f32_e32 v75, v142, v132
	v_add_f32_e32 v139, v177, v165
	v_dual_fmamk_f32 v189, v123, 0xbf3f9e67, v126 :: v_dual_add_f32 v132, v144, v134
	v_fma_f32 v123, 0xbf3f9e67, v123, -v126
	v_dual_fmamk_f32 v126, v129, 0x3f6f5d39, v160 :: v_dual_add_f32 v67, v120, v67
	v_dual_fmamk_f32 v125, v127, 0xbeb58ec6, v159 :: v_dual_add_f32 v134, v176, v164
	v_dual_add_f32 v56, v56, v60 :: v_dual_add_f32 v57, v57, v114
	v_dual_add_f32 v131, v143, v133 :: v_dual_add_f32 v136, v146, v136
	v_add_f32_e32 v69, v122, v69
	v_dual_add_f32 v133, v175, v163 :: v_dual_add_f32 v140, v178, v166
	s_delay_alu instid0(VALU_DEP_4)
	v_dual_add_f32 v122, v186, v134 :: v_dual_add_f32 v57, v57, v116
	v_dual_add_f32 v56, v56, v62 :: v_dual_add_f32 v71, v150, v71
	;; [unrolled: 1-line block ×4, first 2 shown]
	v_add_f32_e32 v63, v188, v140
	v_add_f32_e32 v120, v154, v132
	v_dual_add_f32 v132, v156, v136 :: v_dual_add_f32 v57, v57, v49
	v_fma_f32 v49, 0xbeb58ec6, v127, -v159
	v_add_f32_e32 v56, v56, v113
	v_dual_add_f32 v66, v119, v66 :: v_dual_add_f32 v119, v153, v131
	v_add_f32_e32 v73, v182, v73
	v_dual_add_f32 v141, v179, v167 :: v_dual_add_f32 v142, v180, v168
	v_dual_fmac_f32 v160, 0xbf6f5d39, v129 :: v_dual_add_f32 v49, v49, v70
	v_dual_add_f32 v56, v56, v115 :: v_dual_mul_f32 v115, 0xbf3f9e67, v128
	v_dual_add_f32 v68, v121, v68 :: v_dual_add_f32 v131, v155, v135
	s_delay_alu instid0(VALU_DEP_4) | instskip(SKIP_1) | instid1(VALU_DEP_4)
	v_add_f32_e32 v134, v190, v142
	v_add_f32_e32 v66, v123, v66
	v_dual_add_f32 v70, v160, v71 :: v_dual_fmamk_f32 v71, v129, 0xbf29c268, v115
	s_delay_alu instid0(VALU_DEP_4) | instskip(SKIP_2) | instid1(VALU_DEP_4)
	v_dual_mul_f32 v123, 0x3eedf032, v130 :: v_dual_add_f32 v68, v125, v68
	v_add_f32_e32 v56, v56, v48
	v_dual_add_f32 v72, v181, v72 :: v_dual_add_f32 v113, v158, v138
	v_add_f32_e32 v71, v71, v73
	s_delay_alu instid0(VALU_DEP_4)
	v_fmamk_f32 v73, v127, 0x3f62ad3f, v123
	v_mul_f32_e32 v48, 0x3f29c268, v130
	v_dual_add_f32 v74, v151, v74 :: v_dual_add_f32 v121, v185, v133
	v_dual_add_f32 v114, v189, v141 :: v_dual_add_f32 v67, v124, v67
	v_fmac_f32_e32 v115, 0x3f29c268, v129
	v_add_f32_e32 v73, v73, v117
	v_fma_f32 v117, 0x3f62ad3f, v127, -v123
	v_fmamk_f32 v116, v127, 0xbf3f9e67, v48
	v_fma_f32 v48, 0xbf3f9e67, v127, -v48
	v_dual_mul_f32 v124, 0x3df6dbef, v128 :: v_dual_add_f32 v133, v157, v137
	s_delay_alu instid0(VALU_DEP_3) | instskip(NEXT) | instid1(VALU_DEP_3)
	v_dual_add_f32 v117, v117, v119 :: v_dual_add_f32 v72, v116, v72
	v_add_f32_e32 v48, v48, v74
	s_delay_alu instid0(VALU_DEP_3) | instskip(SKIP_3) | instid1(VALU_DEP_4)
	v_dual_add_f32 v74, v115, v75 :: v_dual_fmamk_f32 v119, v129, 0x3f7e222b, v124
	v_mul_f32_e32 v116, 0x3f62ad3f, v128
	v_dual_mul_f32 v75, 0xbf7e222b, v130 :: v_dual_add_f32 v62, v187, v139
	v_add_f32_e32 v69, v126, v69
	v_add_f32_e32 v119, v119, v122
	s_delay_alu instid0(VALU_DEP_4) | instskip(NEXT) | instid1(VALU_DEP_4)
	v_fmamk_f32 v115, v129, 0xbeedf032, v116
	v_fmamk_f32 v123, v127, 0x3df6dbef, v75
	v_fma_f32 v75, 0x3df6dbef, v127, -v75
	v_fmac_f32_e32 v116, 0x3eedf032, v129
	v_mul_f32_e32 v125, 0x3f52af12, v130
	v_add_f32_e32 v115, v115, v118
	v_dual_add_f32 v118, v123, v121 :: v_dual_mul_f32 v121, 0xbf788fa5, v128
	s_delay_alu instid0(VALU_DEP_4) | instskip(SKIP_1) | instid1(VALU_DEP_3)
	v_dual_add_f32 v75, v75, v131 :: v_dual_add_f32 v116, v116, v120
	v_mul_f32_e32 v120, 0x3e750f2a, v130
	v_dual_sub_f32 v126, v59, v61 :: v_dual_fmamk_f32 v123, v129, 0xbe750f2a, v121
	v_fmac_f32_e32 v121, 0x3e750f2a, v129
	s_delay_alu instid0(VALU_DEP_3) | instskip(SKIP_1) | instid1(VALU_DEP_4)
	v_dual_add_f32 v59, v61, v59 :: v_dual_fmamk_f32 v122, v127, 0xbf788fa5, v120
	v_fma_f32 v120, 0xbf788fa5, v127, -v120
	v_add_f32_e32 v63, v123, v63
	s_delay_alu instid0(VALU_DEP_4) | instskip(SKIP_4) | instid1(VALU_DEP_3)
	v_add_f32_e32 v113, v121, v113
	v_fmac_f32_e32 v124, 0xbf7e222b, v129
	v_dual_add_f32 v62, v122, v62 :: v_dual_mul_f32 v123, 0x3f116cb1, v128
	v_add_f32_e32 v120, v120, v133
	v_fma_f32 v61, 0x3f116cb1, v127, -v125
	v_dual_add_f32 v124, v124, v132 :: v_dual_fmamk_f32 v121, v129, 0xbf52af12, v123
	v_fmamk_f32 v122, v127, 0x3f116cb1, v125
	v_fmac_f32_e32 v123, 0x3f52af12, v129
	v_mul_f32_e32 v125, 0xbf3f9e67, v59
	v_add_f32_e32 v61, v61, v66
	v_add_f32_e32 v121, v121, v134
	;; [unrolled: 1-line block ×4, first 2 shown]
	v_sub_f32_e32 v58, v58, v60
	v_add_f32_e32 v66, v123, v67
	v_mul_f32_e32 v127, 0x3df6dbef, v59
	s_delay_alu instid0(VALU_DEP_3) | instskip(SKIP_1) | instid1(VALU_DEP_2)
	v_fmamk_f32 v67, v58, 0x3f29c268, v125
	v_fmac_f32_e32 v125, 0xbf29c268, v58
	v_dual_mul_f32 v128, 0xbf29c268, v126 :: v_dual_add_f32 v67, v67, v69
	s_delay_alu instid0(VALU_DEP_2) | instskip(NEXT) | instid1(VALU_DEP_2)
	v_add_f32_e32 v70, v125, v70
	v_fma_f32 v123, 0xbf3f9e67, v122, -v128
	v_fmamk_f32 v60, v122, 0xbf3f9e67, v128
	v_mul_f32_e32 v125, 0xbf52af12, v126
	s_delay_alu instid0(VALU_DEP_3) | instskip(NEXT) | instid1(VALU_DEP_3)
	v_dual_mul_f32 v128, 0xbf788fa5, v59 :: v_dual_add_f32 v49, v123, v49
	v_add_f32_e32 v60, v60, v68
	v_mul_f32_e32 v68, 0x3f7e222b, v126
	s_delay_alu instid0(VALU_DEP_1) | instskip(NEXT) | instid1(VALU_DEP_1)
	v_fmamk_f32 v69, v122, 0x3df6dbef, v68
	v_add_f32_e32 v69, v69, v72
	v_fma_f32 v68, 0x3df6dbef, v122, -v68
	v_fmamk_f32 v123, v58, 0xbf7e222b, v127
	v_fmamk_f32 v72, v122, 0x3f116cb1, v125
	s_delay_alu instid0(VALU_DEP_2) | instskip(NEXT) | instid1(VALU_DEP_2)
	v_dual_add_f32 v68, v68, v48 :: v_dual_add_f32 v71, v123, v71
	v_dual_mul_f32 v123, 0x3f116cb1, v59 :: v_dual_add_f32 v72, v72, v73
	v_fma_f32 v125, 0x3f116cb1, v122, -v125
	s_delay_alu instid0(VALU_DEP_2) | instskip(SKIP_3) | instid1(VALU_DEP_4)
	v_fmamk_f32 v73, v58, 0x3f52af12, v123
	v_mul_f32_e32 v48, 0x3e750f2a, v126
	v_fmac_f32_e32 v123, 0xbf52af12, v58
	v_fmac_f32_e32 v127, 0x3f7e222b, v58
	v_add_f32_e32 v73, v73, v115
	s_delay_alu instid0(VALU_DEP_3) | instskip(NEXT) | instid1(VALU_DEP_3)
	v_dual_add_f32 v115, v125, v117 :: v_dual_add_f32 v116, v123, v116
	v_dual_add_f32 v74, v127, v74 :: v_dual_fmamk_f32 v127, v122, 0xbf788fa5, v48
	v_mul_f32_e32 v123, 0x3eedf032, v126
	v_fma_f32 v48, 0xbf788fa5, v122, -v48
	v_mul_f32_e32 v125, 0x3f62ad3f, v59
	v_mul_f32_e32 v59, 0xbeb58ec6, v59
	v_dual_add_f32 v117, v127, v118 :: v_dual_fmamk_f32 v118, v58, 0xbe750f2a, v128
	s_delay_alu instid0(VALU_DEP_4) | instskip(NEXT) | instid1(VALU_DEP_4)
	v_dual_fmac_f32 v128, 0x3e750f2a, v58 :: v_dual_add_f32 v75, v48, v75
	v_fmamk_f32 v48, v58, 0xbeedf032, v125
	v_mul_f32_e32 v126, 0xbf6f5d39, v126
	s_delay_alu instid0(VALU_DEP_4) | instskip(NEXT) | instid1(VALU_DEP_4)
	v_add_f32_e32 v118, v118, v119
	v_dual_fmamk_f32 v119, v122, 0x3f62ad3f, v123 :: v_dual_add_f32 v124, v128, v124
	v_dual_add_f32 v128, v55, v53 :: v_dual_sub_f32 v127, v53, v55
	s_delay_alu instid0(VALU_DEP_2) | instskip(SKIP_4) | instid1(VALU_DEP_4)
	v_add_f32_e32 v119, v119, v62
	v_fma_f32 v62, 0x3f62ad3f, v122, -v123
	v_dual_add_f32 v123, v48, v63 :: v_dual_fmamk_f32 v48, v122, 0xbeb58ec6, v126
	v_fma_f32 v53, 0xbeb58ec6, v122, -v126
	v_sub_f32_e32 v122, v52, v54
	v_add_f32_e32 v120, v62, v120
	s_delay_alu instid0(VALU_DEP_4) | instskip(NEXT) | instid1(VALU_DEP_4)
	v_add_f32_e32 v114, v48, v114
	v_dual_fmac_f32 v125, 0x3eedf032, v58 :: v_dual_add_f32 v126, v53, v61
	v_fmamk_f32 v48, v58, 0x3f6f5d39, v59
	s_delay_alu instid0(VALU_DEP_2) | instskip(SKIP_1) | instid1(VALU_DEP_1)
	v_dual_mul_f32 v62, 0xbe750f2a, v127 :: v_dual_add_f32 v113, v125, v113
	v_add_f32_e32 v125, v54, v52
	v_dual_add_f32 v121, v48, v121 :: v_dual_fmamk_f32 v52, v125, 0xbf788fa5, v62
	s_delay_alu instid0(VALU_DEP_1) | instskip(NEXT) | instid1(VALU_DEP_1)
	v_dual_fmac_f32 v59, 0xbf6f5d39, v58 :: v_dual_add_f32 v58, v52, v60
	v_dual_mul_f32 v54, 0xbf788fa5, v128 :: v_dual_add_f32 v129, v59, v66
	v_mul_f32_e32 v52, 0x3eedf032, v127
	v_fma_f32 v53, 0xbf788fa5, v125, -v62
	v_mul_f32_e32 v55, 0x3f62ad3f, v128
	s_delay_alu instid0(VALU_DEP_4)
	v_fmamk_f32 v48, v122, 0x3e750f2a, v54
	v_fmac_f32_e32 v54, 0xbe750f2a, v122
	v_fmamk_f32 v60, v125, 0x3f62ad3f, v52
	v_fma_f32 v52, 0x3f62ad3f, v125, -v52
	v_mul_f32_e32 v63, 0xbf29c268, v127
	v_dual_add_f32 v59, v48, v67 :: v_dual_add_f32 v48, v53, v49
	v_add_f32_e32 v49, v54, v70
	v_dual_fmamk_f32 v53, v122, 0xbeedf032, v55 :: v_dual_add_f32 v60, v60, v69
	v_mul_f32_e32 v66, 0xbf3f9e67, v128
	v_dual_add_f32 v54, v52, v68 :: v_dual_mul_f32 v67, 0x3f52af12, v127
	s_delay_alu instid0(VALU_DEP_3)
	v_add_f32_e32 v61, v53, v71
	v_fmamk_f32 v53, v125, 0xbf3f9e67, v63
	v_fmac_f32_e32 v55, 0x3eedf032, v122
	v_fmamk_f32 v52, v122, 0x3f29c268, v66
	v_fmac_f32_e32 v66, 0xbf29c268, v122
	v_dual_fmamk_f32 v68, v125, 0x3f116cb1, v67 :: v_dual_mul_f32 v69, 0x3f116cb1, v128
	s_delay_alu instid0(VALU_DEP_4) | instskip(SKIP_1) | instid1(VALU_DEP_1)
	v_dual_add_f32 v62, v53, v72 :: v_dual_add_f32 v55, v55, v74
	v_fma_f32 v53, 0xbf3f9e67, v125, -v63
	v_dual_add_f32 v63, v52, v73 :: v_dual_add_f32 v52, v53, v115
	s_delay_alu instid0(VALU_DEP_4) | instskip(SKIP_3) | instid1(VALU_DEP_1)
	v_dual_add_f32 v53, v66, v116 :: v_dual_add_f32 v66, v68, v117
	v_fmamk_f32 v68, v122, 0xbf52af12, v69
	v_fma_f32 v71, 0x3f116cb1, v125, -v67
	v_fmac_f32_e32 v69, 0x3f52af12, v122
	v_dual_add_f32 v69, v69, v124 :: v_dual_mul_f32 v70, 0xbf6f5d39, v127
	s_delay_alu instid0(VALU_DEP_4) | instskip(NEXT) | instid1(VALU_DEP_4)
	v_add_f32_e32 v67, v68, v118
	v_dual_mul_f32 v73, 0xbeb58ec6, v128 :: v_dual_add_f32 v68, v71, v75
	s_delay_alu instid0(VALU_DEP_3) | instskip(SKIP_1) | instid1(VALU_DEP_3)
	v_fmamk_f32 v72, v125, 0xbeb58ec6, v70
	v_fma_f32 v74, 0xbeb58ec6, v125, -v70
	v_fmamk_f32 v71, v122, 0x3f6f5d39, v73
	v_mul_f32_e32 v75, 0x3f7e222b, v127
	s_delay_alu instid0(VALU_DEP_4) | instskip(NEXT) | instid1(VALU_DEP_4)
	v_dual_mul_f32 v115, 0x3df6dbef, v128 :: v_dual_add_f32 v70, v72, v119
	v_add_f32_e32 v72, v74, v120
	s_delay_alu instid0(VALU_DEP_3) | instskip(NEXT) | instid1(VALU_DEP_3)
	v_dual_fmamk_f32 v74, v125, 0x3df6dbef, v75 :: v_dual_add_f32 v71, v71, v123
	v_fmamk_f32 v116, v122, 0xbf7e222b, v115
	v_fma_f32 v117, 0x3df6dbef, v125, -v75
	v_fmac_f32_e32 v115, 0x3f7e222b, v122
	v_fmac_f32_e32 v73, 0xbf6f5d39, v122
	s_delay_alu instid0(VALU_DEP_4) | instskip(NEXT) | instid1(VALU_DEP_3)
	v_dual_add_f32 v74, v74, v114 :: v_dual_add_f32 v75, v116, v121
	v_add_f32_e32 v114, v115, v129
	s_delay_alu instid0(VALU_DEP_3)
	v_add_f32_e32 v73, v73, v113
	v_add_f32_e32 v113, v117, v126
	ds_store_2addr_b64 v64, v[56:57], v[58:59] offset1:1
	ds_store_2addr_b64 v64, v[60:61], v[62:63] offset0:2 offset1:3
	ds_store_2addr_b64 v64, v[66:67], v[70:71] offset0:4 offset1:5
	;; [unrolled: 1-line block ×5, first 2 shown]
	ds_store_b64 v64, v[48:49] offset:96
	v_add_nc_u32_e32 v113, 0xc00, v106
	global_wb scope:SCOPE_SE
	s_wait_dscnt 0x0
	s_barrier_signal -1
	s_barrier_wait -1
	global_inv scope:SCOPE_SE
	ds_load_2addr_b64 v[56:59], v106 offset1:65
	ds_load_2addr_b64 v[72:75], v106 offset0:169 offset1:234
	ds_load_2addr_b64 v[68:71], v65 offset0:82 offset1:147
	;; [unrolled: 1-line block ×4, first 2 shown]
	s_and_saveexec_b32 s2, vcc_lo
	s_cbranch_execz .LBB0_7
; %bb.6:
	v_add_nc_u32_e32 v52, 0x400, v106
	ds_load_2addr_b64 v[48:51], v113 offset0:84 offset1:253
	ds_load_2addr_b64 v[52:55], v52 offset0:2 offset1:171
	ds_load_b64 v[103:104], v106 offset:6448
.LBB0_7:
	s_wait_alu 0xfffe
	s_or_b32 exec_lo, exec_lo, s2
	s_wait_dscnt 0x3
	v_mul_f32_e32 v112, v21, v73
	v_mul_f32_e32 v21, v21, v72
	s_wait_dscnt 0x2
	v_mul_f32_e32 v113, v23, v69
	v_mul_f32_e32 v23, v23, v68
	global_wb scope:SCOPE_SE
	s_wait_dscnt 0x0
	v_fmac_f32_e32 v112, v20, v72
	v_mul_f32_e32 v72, v15, v61
	v_fma_f32 v20, v20, v73, -v21
	v_mul_f32_e32 v21, v13, v65
	v_mul_f32_e32 v13, v13, v64
	v_fmac_f32_e32 v113, v22, v68
	v_fmac_f32_e32 v72, v14, v60
	v_fma_f32 v22, v22, v69, -v23
	v_dual_fmac_f32 v21, v12, v64 :: v_dual_mul_f32 v64, v17, v75
	s_barrier_signal -1
	s_barrier_wait -1
	global_inv scope:SCOPE_SE
	v_fmac_f32_e32 v64, v16, v74
	v_fma_f32 v23, v12, v65, -v13
	v_dual_mul_f32 v12, v15, v60 :: v_dual_mul_f32 v13, v17, v74
	v_mul_f32_e32 v65, v19, v71
	v_mul_f32_e32 v15, v19, v70
	s_delay_alu instid0(VALU_DEP_3) | instskip(NEXT) | instid1(VALU_DEP_3)
	v_fma_f32 v60, v14, v61, -v12
	v_dual_add_f32 v14, v56, v112 :: v_dual_fmac_f32 v65, v18, v70
	v_mul_f32_e32 v70, v11, v63
	v_add_f32_e32 v12, v113, v21
	v_fma_f32 v68, v16, v75, -v13
	v_fma_f32 v69, v18, v71, -v15
	s_delay_alu instid0(VALU_DEP_4)
	v_dual_mul_f32 v61, v9, v67 :: v_dual_fmac_f32 v70, v10, v62
	v_dual_sub_f32 v17, v22, v23 :: v_dual_sub_f32 v16, v72, v21
	v_sub_f32_e32 v15, v20, v60
	v_mul_f32_e32 v13, v9, v66
	v_fma_f32 v9, -0.5, v12, v56
	v_fmac_f32_e32 v61, v8, v66
	v_add_f32_e32 v18, v112, v72
	v_sub_f32_e32 v66, v69, v68
	s_delay_alu instid0(VALU_DEP_4) | instskip(SKIP_3) | instid1(VALU_DEP_4)
	v_fmamk_f32 v12, v15, 0xbf737871, v9
	v_fma_f32 v8, v8, v67, -v13
	v_add_f32_e32 v13, v14, v113
	v_sub_f32_e32 v14, v112, v113
	v_fmac_f32_e32 v12, 0xbf167918, v17
	v_fmac_f32_e32 v9, 0x3f737871, v15
	s_delay_alu instid0(VALU_DEP_4) | instskip(NEXT) | instid1(VALU_DEP_4)
	v_add_f32_e32 v13, v13, v21
	v_add_f32_e32 v19, v14, v16
	v_fma_f32 v14, -0.5, v18, v56
	v_add_f32_e32 v56, v57, v20
	s_delay_alu instid0(VALU_DEP_2) | instskip(NEXT) | instid1(VALU_DEP_4)
	v_dual_fmamk_f32 v18, v17, 0x3f737871, v14 :: v_dual_mul_f32 v11, v11, v62
	v_fmac_f32_e32 v12, 0x3e9e377a, v19
	v_add_f32_e32 v62, v22, v23
	v_add_f32_e32 v16, v13, v72
	s_delay_alu instid0(VALU_DEP_4) | instskip(SKIP_4) | instid1(VALU_DEP_3)
	v_dual_sub_f32 v13, v21, v72 :: v_dual_fmac_f32 v18, 0xbf167918, v15
	v_fma_f32 v11, v10, v63, -v11
	v_dual_sub_f32 v10, v113, v112 :: v_dual_fmac_f32 v9, 0x3f167918, v17
	v_fmac_f32_e32 v14, 0xbf737871, v17
	v_sub_f32_e32 v21, v113, v21
	v_add_f32_e32 v63, v10, v13
	v_add_f32_e32 v13, v56, v22
	v_sub_f32_e32 v56, v112, v72
	v_fma_f32 v10, -0.5, v62, v57
	v_fmac_f32_e32 v14, 0x3f167918, v15
	v_dual_fmac_f32 v18, 0x3e9e377a, v63 :: v_dual_add_f32 v15, v20, v60
	v_fmac_f32_e32 v9, 0x3e9e377a, v19
	v_add_f32_e32 v17, v13, v23
	v_fmamk_f32 v13, v56, 0x3f737871, v10
	v_dual_sub_f32 v19, v20, v22 :: v_dual_fmac_f32 v14, 0x3e9e377a, v63
	v_fma_f32 v15, -0.5, v15, v57
	v_fmac_f32_e32 v10, 0xbf737871, v56
	v_dual_sub_f32 v62, v60, v23 :: v_dual_add_f32 v17, v17, v60
	v_sub_f32_e32 v20, v22, v20
	v_dual_sub_f32 v22, v23, v60 :: v_dual_add_f32 v23, v65, v61
	v_fmac_f32_e32 v13, 0x3f167918, v21
	s_delay_alu instid0(VALU_DEP_4) | instskip(NEXT) | instid1(VALU_DEP_3)
	v_dual_add_f32 v57, v19, v62 :: v_dual_fmac_f32 v10, 0xbf167918, v21
	v_add_f32_e32 v60, v20, v22
	s_delay_alu instid0(VALU_DEP_4) | instskip(SKIP_4) | instid1(VALU_DEP_4)
	v_fma_f32 v20, -0.5, v23, v58
	v_dual_sub_f32 v23, v68, v11 :: v_dual_sub_f32 v62, v70, v61
	v_fmamk_f32 v19, v21, 0xbf737871, v15
	v_fmac_f32_e32 v15, 0x3f737871, v21
	v_dual_add_f32 v21, v58, v64 :: v_dual_fmac_f32 v10, 0x3e9e377a, v57
	v_fmamk_f32 v22, v23, 0xbf737871, v20
	s_delay_alu instid0(VALU_DEP_4)
	v_fmac_f32_e32 v19, 0x3f167918, v56
	v_fmac_f32_e32 v20, 0x3f737871, v23
	v_dual_fmac_f32 v15, 0xbf167918, v56 :: v_dual_sub_f32 v56, v64, v65
	v_fmac_f32_e32 v13, 0x3e9e377a, v57
	v_sub_f32_e32 v57, v69, v8
	v_add_f32_e32 v63, v64, v70
	s_delay_alu instid0(VALU_DEP_4) | instskip(NEXT) | instid1(VALU_DEP_3)
	v_add_f32_e32 v62, v56, v62
	v_fmac_f32_e32 v20, 0x3f167918, v57
	v_add_f32_e32 v21, v21, v65
	v_fmac_f32_e32 v22, 0xbf167918, v57
	v_fma_f32 v58, -0.5, v63, v58
	s_delay_alu instid0(VALU_DEP_3) | instskip(NEXT) | instid1(VALU_DEP_3)
	v_dual_fmac_f32 v20, 0x3e9e377a, v62 :: v_dual_add_f32 v21, v21, v61
	v_dual_fmac_f32 v19, 0x3e9e377a, v60 :: v_dual_fmac_f32 v22, 0x3e9e377a, v62
	v_sub_f32_e32 v62, v65, v64
	v_sub_f32_e32 v64, v64, v70
	;; [unrolled: 1-line block ×3, first 2 shown]
	v_fmac_f32_e32 v15, 0x3e9e377a, v60
	v_fmamk_f32 v60, v57, 0x3f737871, v58
	v_dual_fmac_f32 v58, 0xbf737871, v57 :: v_dual_add_f32 v57, v59, v68
	s_delay_alu instid0(VALU_DEP_2) | instskip(SKIP_1) | instid1(VALU_DEP_3)
	v_dual_sub_f32 v65, v65, v61 :: v_dual_fmac_f32 v60, 0xbf167918, v23
	v_add_f32_e32 v56, v21, v70
	v_dual_add_f32 v21, v69, v8 :: v_dual_fmac_f32 v58, 0x3f167918, v23
	s_delay_alu instid0(VALU_DEP_1) | instskip(NEXT) | instid1(VALU_DEP_1)
	v_fma_f32 v21, -0.5, v21, v59
	v_dual_fmamk_f32 v23, v64, 0x3f737871, v21 :: v_dual_add_f32 v62, v62, v63
	v_add_f32_e32 v63, v68, v11
	v_add_f32_e32 v57, v57, v69
	v_fmac_f32_e32 v21, 0xbf737871, v64
	s_delay_alu instid0(VALU_DEP_4) | instskip(NEXT) | instid1(VALU_DEP_4)
	v_fmac_f32_e32 v60, 0x3e9e377a, v62
	v_dual_fmac_f32 v58, 0x3e9e377a, v62 :: v_dual_fmac_f32 v59, -0.5, v63
	s_delay_alu instid0(VALU_DEP_4) | instskip(SKIP_1) | instid1(VALU_DEP_3)
	v_dual_add_f32 v57, v57, v8 :: v_dual_sub_f32 v62, v68, v69
	v_dual_sub_f32 v63, v11, v8 :: v_dual_sub_f32 v8, v8, v11
	v_fmamk_f32 v61, v65, 0xbf737871, v59
	v_fmac_f32_e32 v59, 0x3f737871, v65
	s_delay_alu instid0(VALU_DEP_3) | instskip(NEXT) | instid1(VALU_DEP_4)
	v_dual_fmac_f32 v23, 0x3f167918, v65 :: v_dual_add_f32 v62, v62, v63
	v_add_f32_e32 v8, v66, v8
	s_delay_alu instid0(VALU_DEP_4) | instskip(NEXT) | instid1(VALU_DEP_4)
	v_fmac_f32_e32 v61, 0x3f167918, v64
	v_fmac_f32_e32 v59, 0xbf167918, v64
	;; [unrolled: 1-line block ×3, first 2 shown]
	v_add_f32_e32 v57, v57, v11
	v_fmac_f32_e32 v23, 0x3e9e377a, v62
	v_fmac_f32_e32 v61, 0x3e9e377a, v8
	;; [unrolled: 1-line block ×4, first 2 shown]
	ds_store_2addr_b64 v111, v[16:17], v[12:13] offset1:13
	ds_store_2addr_b64 v111, v[18:19], v[14:15] offset0:26 offset1:39
	ds_store_b64 v111, v[9:10] offset:416
	ds_store_2addr_b64 v110, v[56:57], v[22:23] offset1:13
	ds_store_2addr_b64 v110, v[60:61], v[58:59] offset0:26 offset1:39
	ds_store_b64 v110, v[20:21] offset:416
	s_and_saveexec_b32 s2, vcc_lo
	s_cbranch_execz .LBB0_9
; %bb.8:
	v_dual_mul_f32 v8, v5, v54 :: v_dual_mul_f32 v9, v3, v103
	v_mul_f32_e32 v10, v7, v48
	v_dual_mul_f32 v11, v7, v49 :: v_dual_mul_f32 v12, v1, v51
	s_delay_alu instid0(VALU_DEP_3) | instskip(NEXT) | instid1(VALU_DEP_4)
	v_fma_f32 v8, v4, v55, -v8
	v_fma_f32 v9, v2, v104, -v9
	v_mul_f32_e32 v1, v1, v50
	v_fma_f32 v10, v6, v49, -v10
	v_dual_fmac_f32 v11, v6, v48 :: v_dual_fmac_f32 v12, v0, v50
	s_delay_alu instid0(VALU_DEP_4) | instskip(SKIP_2) | instid1(VALU_DEP_4)
	v_dual_add_f32 v6, v8, v9 :: v_dual_mul_f32 v13, v5, v55
	v_mul_f32_e32 v14, v3, v104
	v_fma_f32 v15, v0, v51, -v1
	v_sub_f32_e32 v16, v11, v12
	s_delay_alu instid0(VALU_DEP_4) | instskip(SKIP_1) | instid1(VALU_DEP_4)
	v_fma_f32 v1, -0.5, v6, v53
	v_fmac_f32_e32 v13, v4, v54
	v_add_f32_e32 v5, v10, v15
	s_delay_alu instid0(VALU_DEP_3) | instskip(SKIP_1) | instid1(VALU_DEP_3)
	v_dual_fmac_f32 v14, v2, v103 :: v_dual_fmamk_f32 v3, v16, 0x3f737871, v1
	v_dual_sub_f32 v2, v15, v9 :: v_dual_fmac_f32 v1, 0xbf737871, v16
	v_fma_f32 v5, -0.5, v5, v53
	s_delay_alu instid0(VALU_DEP_3) | instskip(SKIP_2) | instid1(VALU_DEP_3)
	v_sub_f32_e32 v4, v13, v14
	v_sub_f32_e32 v0, v10, v8
	v_dual_sub_f32 v18, v12, v14 :: v_dual_sub_f32 v17, v10, v15
	v_fmac_f32_e32 v3, 0xbf167918, v4
	v_fmamk_f32 v7, v4, 0xbf737871, v5
	s_delay_alu instid0(VALU_DEP_4) | instskip(NEXT) | instid1(VALU_DEP_2)
	v_add_f32_e32 v0, v0, v2
	v_dual_sub_f32 v2, v8, v10 :: v_dual_fmac_f32 v7, 0xbf167918, v16
	s_delay_alu instid0(VALU_DEP_2) | instskip(SKIP_2) | instid1(VALU_DEP_2)
	v_fmac_f32_e32 v3, 0x3e9e377a, v0
	v_dual_fmac_f32 v1, 0x3f167918, v4 :: v_dual_sub_f32 v6, v9, v15
	v_fmac_f32_e32 v5, 0x3f737871, v4
	v_dual_fmac_f32 v1, 0x3e9e377a, v0 :: v_dual_add_f32 v0, v13, v14
	s_delay_alu instid0(VALU_DEP_3) | instskip(SKIP_1) | instid1(VALU_DEP_4)
	v_add_f32_e32 v6, v2, v6
	v_add_f32_e32 v2, v53, v8
	v_dual_fmac_f32 v5, 0x3f167918, v16 :: v_dual_sub_f32 v8, v8, v9
	s_delay_alu instid0(VALU_DEP_4) | instskip(SKIP_1) | instid1(VALU_DEP_4)
	v_fma_f32 v0, -0.5, v0, v52
	v_sub_f32_e32 v16, v14, v12
	v_add_f32_e32 v4, v2, v10
	v_dual_sub_f32 v10, v11, v13 :: v_dual_fmac_f32 v7, 0x3e9e377a, v6
	s_delay_alu instid0(VALU_DEP_2) | instskip(SKIP_1) | instid1(VALU_DEP_3)
	v_dual_fmac_f32 v5, 0x3e9e377a, v6 :: v_dual_add_f32 v4, v4, v15
	v_dual_fmamk_f32 v2, v17, 0xbf737871, v0 :: v_dual_add_f32 v15, v11, v12
	v_add_f32_e32 v10, v10, v18
	v_fmac_f32_e32 v0, 0x3f737871, v17
	s_delay_alu instid0(VALU_DEP_3) | instskip(NEXT) | instid1(VALU_DEP_4)
	v_dual_add_f32 v9, v4, v9 :: v_dual_fmac_f32 v2, 0x3f167918, v8
	v_fma_f32 v4, -0.5, v15, v52
	v_add_f32_e32 v15, v52, v13
	s_delay_alu instid0(VALU_DEP_4) | instskip(NEXT) | instid1(VALU_DEP_2)
	v_dual_sub_f32 v13, v13, v11 :: v_dual_fmac_f32 v0, 0xbf167918, v8
	v_dual_fmac_f32 v2, 0x3e9e377a, v10 :: v_dual_add_f32 v11, v15, v11
	s_delay_alu instid0(VALU_DEP_4) | instskip(SKIP_3) | instid1(VALU_DEP_4)
	v_fmamk_f32 v6, v8, 0x3f737871, v4
	v_fmac_f32_e32 v4, 0xbf737871, v8
	v_mul_u32_u24_e32 v15, 0x41, v109
	v_add_f32_e32 v13, v13, v16
	v_dual_add_f32 v11, v11, v12 :: v_dual_fmac_f32 v6, 0x3f167918, v17
	s_delay_alu instid0(VALU_DEP_4) | instskip(NEXT) | instid1(VALU_DEP_4)
	v_fmac_f32_e32 v4, 0xbf167918, v17
	v_add_nc_u32_e32 v12, v15, v108
	v_fmac_f32_e32 v0, 0x3e9e377a, v10
	s_delay_alu instid0(VALU_DEP_4)
	v_add_f32_e32 v8, v11, v14
	v_fmac_f32_e32 v6, 0x3e9e377a, v13
	v_fmac_f32_e32 v4, 0x3e9e377a, v13
	v_lshl_add_u32 v11, v12, 3, v107
	ds_store_2addr_b64 v11, v[8:9], v[4:5] offset1:13
	ds_store_2addr_b64 v11, v[0:1], v[2:3] offset0:26 offset1:39
	ds_store_b64 v11, v[6:7] offset:416
.LBB0_9:
	s_wait_alu 0xfffe
	s_or_b32 exec_lo, exec_lo, s2
	global_wb scope:SCOPE_SE
	s_wait_dscnt 0x0
	s_barrier_signal -1
	s_barrier_wait -1
	global_inv scope:SCOPE_SE
	ds_load_2addr_b64 v[10:13], v106 offset1:65
	ds_load_2addr_b64 v[4:7], v106 offset0:130 offset1:195
	v_add_nc_u32_e32 v3, 0x800, v106
	v_add_nc_u32_e32 v2, 0x1000, v106
	s_mov_b32 s2, 0x622898b1
	s_mov_b32 s3, 0x3f5363ac
	s_wait_dscnt 0x1
	v_mul_f32_e32 v22, v45, v13
	s_wait_dscnt 0x0
	v_mul_f32_e32 v23, v47, v5
	ds_load_2addr_b64 v[14:17], v3 offset0:4 offset1:69
	ds_load_b64 v[0:1], v106 offset:6240
	ds_load_2addr_b64 v[18:21], v3 offset0:134 offset1:199
	ds_load_2addr_b64 v[48:51], v2 offset0:8 offset1:73
	;; [unrolled: 1-line block ×3, first 2 shown]
	v_mul_f32_e32 v8, v45, v12
	v_dual_mul_f32 v45, v41, v7 :: v_dual_fmac_f32 v22, v44, v12
	v_mul_f32_e32 v9, v47, v4
	v_mul_f32_e32 v41, v41, v6
	v_fmac_f32_e32 v23, v46, v4
	s_delay_alu instid0(VALU_DEP_4)
	v_fmac_f32_e32 v45, v40, v6
	v_fma_f32 v12, v44, v13, -v8
	s_wait_dscnt 0x4
	v_mul_f32_e32 v4, v43, v14
	v_mul_f32_e32 v8, v33, v17
	v_fma_f32 v13, v46, v5, -v9
	v_mul_f32_e32 v44, v43, v15
	v_fma_f32 v40, v40, v7, -v41
	v_mul_f32_e32 v5, v33, v16
	v_dual_fmac_f32 v8, v32, v16 :: v_dual_add_f32 v7, v10, v22
	s_delay_alu instid0(VALU_DEP_4)
	v_fmac_f32_e32 v44, v42, v14
	v_fma_f32 v14, v42, v15, -v4
	s_wait_dscnt 0x2
	v_mul_f32_e32 v4, v35, v19
	v_fma_f32 v9, v32, v17, -v5
	v_mul_f32_e32 v5, v25, v21
	v_dual_add_f32 v7, v7, v23 :: v_dual_mul_f32 v16, v25, v20
	v_mul_f32_e32 v6, v35, v18
	v_dual_add_f32 v15, v11, v12 :: v_dual_fmac_f32 v4, v34, v18
	s_delay_alu instid0(VALU_DEP_4)
	v_fmac_f32_e32 v5, v24, v20
	s_wait_dscnt 0x1
	v_dual_mul_f32 v17, v27, v49 :: v_dual_mul_f32 v20, v37, v50
	v_add_f32_e32 v18, v7, v45
	v_fma_f32 v6, v34, v19, -v6
	v_fma_f32 v7, v24, v21, -v16
	s_delay_alu instid0(VALU_DEP_4) | instskip(NEXT) | instid1(VALU_DEP_4)
	v_fmac_f32_e32 v17, v26, v48
	v_dual_add_f32 v15, v15, v13 :: v_dual_add_f32 v18, v18, v44
	v_dual_mul_f32 v16, v27, v48 :: v_dual_mul_f32 v19, v37, v51
	s_wait_dscnt 0x0
	v_dual_mul_f32 v24, v39, v52 :: v_dual_mul_f32 v25, v29, v55
	s_delay_alu instid0(VALU_DEP_3) | instskip(NEXT) | instid1(VALU_DEP_3)
	v_add_f32_e32 v18, v18, v8
	v_fma_f32 v16, v26, v49, -v16
	v_dual_fmac_f32 v19, v36, v50 :: v_dual_mul_f32 v26, v31, v0
	s_delay_alu instid0(VALU_DEP_3) | instskip(SKIP_4) | instid1(VALU_DEP_4)
	v_dual_fmac_f32 v25, v28, v54 :: v_dual_add_f32 v18, v18, v4
	v_add_f32_e32 v15, v15, v40
	v_mul_f32_e32 v21, v39, v53
	v_mul_f32_e32 v27, v31, v1
	v_fma_f32 v1, v30, v1, -v26
	v_dual_add_f32 v18, v18, v5 :: v_dual_add_f32 v15, v15, v14
	s_delay_alu instid0(VALU_DEP_3) | instskip(NEXT) | instid1(VALU_DEP_3)
	v_dual_mul_f32 v26, v29, v54 :: v_dual_fmac_f32 v27, v30, v0
	v_sub_f32_e32 v29, v12, v1
	s_delay_alu instid0(VALU_DEP_3) | instskip(NEXT) | instid1(VALU_DEP_4)
	v_add_f32_e32 v18, v18, v17
	v_add_f32_e32 v15, v15, v9
	v_fmac_f32_e32 v21, v38, v52
	v_fma_f32 v26, v28, v55, -v26
	v_mul_f32_e32 v28, 0xbeedf032, v29
	s_delay_alu instid0(VALU_DEP_4) | instskip(SKIP_3) | instid1(VALU_DEP_4)
	v_dual_add_f32 v18, v18, v19 :: v_dual_add_f32 v15, v15, v6
	v_fma_f32 v20, v36, v51, -v20
	v_fma_f32 v24, v38, v53, -v24
	v_add_f32_e32 v12, v12, v1
	v_dual_add_f32 v0, v18, v21 :: v_dual_add_f32 v15, v15, v7
	v_sub_f32_e32 v51, v13, v26
	s_delay_alu instid0(VALU_DEP_3) | instskip(NEXT) | instid1(VALU_DEP_3)
	v_dual_add_f32 v13, v13, v26 :: v_dual_mul_f32 v32, 0x3f116cb1, v12
	v_dual_add_f32 v0, v0, v25 :: v_dual_add_f32 v15, v15, v16
	v_add_f32_e32 v18, v22, v27
	v_sub_f32_e32 v22, v22, v27
	v_mul_f32_e32 v38, 0xbf6f5d39, v29
	s_delay_alu instid0(VALU_DEP_4) | instskip(SKIP_2) | instid1(VALU_DEP_4)
	v_dual_add_f32 v0, v0, v27 :: v_dual_add_f32 v15, v15, v20
	v_mul_f32_e32 v42, 0xbeb58ec6, v12
	v_fmamk_f32 v30, v18, 0x3f62ad3f, v28
	v_fmamk_f32 v41, v18, 0xbeb58ec6, v38
	v_fma_f32 v38, 0xbeb58ec6, v18, -v38
	v_add_f32_e32 v15, v15, v24
	v_mul_f32_e32 v37, 0x3df6dbef, v12
	v_fmamk_f32 v43, v22, 0x3f6f5d39, v42
	v_dual_add_f32 v41, v10, v41 :: v_dual_fmac_f32 v42, 0xbf6f5d39, v22
	s_delay_alu instid0(VALU_DEP_4) | instskip(SKIP_3) | instid1(VALU_DEP_4)
	v_add_f32_e32 v15, v15, v26
	v_add_f32_e32 v38, v10, v38
	v_fmamk_f32 v39, v22, 0x3f7e222b, v37
	v_fmamk_f32 v34, v22, 0x3f52af12, v32
	v_dual_fmac_f32 v32, 0xbf52af12, v22 :: v_dual_add_f32 v1, v15, v1
	v_add_f32_e32 v15, v10, v30
	s_delay_alu instid0(VALU_DEP_4) | instskip(NEXT) | instid1(VALU_DEP_4)
	v_add_f32_e32 v39, v11, v39
	v_dual_mul_f32 v31, 0x3f62ad3f, v12 :: v_dual_add_f32 v34, v11, v34
	v_mul_f32_e32 v30, 0xbf52af12, v29
	v_add_f32_e32 v42, v11, v42
	v_fma_f32 v28, 0x3f62ad3f, v18, -v28
	s_delay_alu instid0(VALU_DEP_4)
	v_fmamk_f32 v27, v22, 0x3eedf032, v31
	v_fmac_f32_e32 v31, 0xbeedf032, v22
	v_fmamk_f32 v33, v18, 0x3f116cb1, v30
	v_fma_f32 v30, 0x3f116cb1, v18, -v30
	v_mul_f32_e32 v35, 0xbf7e222b, v29
	v_dual_add_f32 v27, v11, v27 :: v_dual_add_f32 v28, v10, v28
	v_fmac_f32_e32 v37, 0xbf7e222b, v22
	s_delay_alu instid0(VALU_DEP_4) | instskip(NEXT) | instid1(VALU_DEP_4)
	v_dual_add_f32 v30, v10, v30 :: v_dual_add_f32 v31, v11, v31
	v_fmamk_f32 v36, v18, 0x3df6dbef, v35
	v_dual_mul_f32 v46, 0xbf29c268, v29 :: v_dual_add_f32 v43, v11, v43
	s_delay_alu instid0(VALU_DEP_4) | instskip(SKIP_1) | instid1(VALU_DEP_4)
	v_add_f32_e32 v37, v11, v37
	v_fma_f32 v35, 0x3df6dbef, v18, -v35
	v_add_f32_e32 v36, v10, v36
	s_delay_alu instid0(VALU_DEP_4)
	v_fmamk_f32 v48, v18, 0xbf3f9e67, v46
	v_fma_f32 v46, 0xbf3f9e67, v18, -v46
	v_mul_f32_e32 v47, 0xbf3f9e67, v12
	v_mul_f32_e32 v29, 0xbe750f2a, v29
	;; [unrolled: 1-line block ×3, first 2 shown]
	v_add_f32_e32 v48, v10, v48
	v_add_f32_e32 v46, v10, v46
	v_fmamk_f32 v49, v22, 0x3f29c268, v47
	v_fmac_f32_e32 v47, 0xbf29c268, v22
	v_fmamk_f32 v50, v18, 0xbf788fa5, v29
	v_dual_fmamk_f32 v52, v22, 0x3e750f2a, v12 :: v_dual_add_f32 v53, v23, v25
	s_delay_alu instid0(VALU_DEP_4)
	v_dual_add_f32 v49, v11, v49 :: v_dual_mul_f32 v54, 0xbf52af12, v51
	v_fma_f32 v18, 0xbf788fa5, v18, -v29
	v_fmac_f32_e32 v12, 0xbe750f2a, v22
	v_sub_f32_e32 v22, v23, v25
	v_add_f32_e32 v33, v10, v33
	v_add_f32_e32 v35, v10, v35
	v_dual_add_f32 v47, v11, v47 :: v_dual_add_f32 v50, v10, v50
	v_dual_fmamk_f32 v23, v53, 0x3f116cb1, v54 :: v_dual_add_f32 v10, v10, v18
	v_mul_f32_e32 v18, 0xbf6f5d39, v51
	v_dual_mul_f32 v25, 0x3f116cb1, v13 :: v_dual_add_f32 v32, v11, v32
	v_dual_add_f32 v26, v11, v52 :: v_dual_mul_f32 v29, 0xbeb58ec6, v13
	v_add_f32_e32 v11, v11, v12
	s_delay_alu instid0(VALU_DEP_3) | instskip(SKIP_1) | instid1(VALU_DEP_2)
	v_dual_add_f32 v12, v23, v15 :: v_dual_fmamk_f32 v15, v22, 0x3f52af12, v25
	v_fma_f32 v23, 0x3f116cb1, v53, -v54
	v_dual_mul_f32 v52, 0xbf3f9e67, v13 :: v_dual_add_f32 v15, v15, v27
	v_fmamk_f32 v27, v53, 0xbeb58ec6, v18
	v_fma_f32 v18, 0xbeb58ec6, v53, -v18
	s_delay_alu instid0(VALU_DEP_4) | instskip(SKIP_1) | instid1(VALU_DEP_3)
	v_dual_add_f32 v23, v23, v28 :: v_dual_fmamk_f32 v28, v22, 0x3f6f5d39, v29
	v_fmac_f32_e32 v29, 0xbf6f5d39, v22
	v_dual_add_f32 v27, v27, v33 :: v_dual_add_f32 v18, v18, v30
	v_mul_f32_e32 v30, 0x3f29c268, v51
	v_fmac_f32_e32 v25, 0xbf52af12, v22
	v_add_f32_e32 v28, v28, v34
	v_dual_mul_f32 v34, 0xbf788fa5, v13 :: v_dual_add_f32 v29, v29, v32
	s_delay_alu instid0(VALU_DEP_3) | instskip(SKIP_1) | instid1(VALU_DEP_1)
	v_add_f32_e32 v25, v25, v31
	v_mul_f32_e32 v31, 0xbe750f2a, v51
	v_fmamk_f32 v33, v53, 0xbf788fa5, v31
	s_delay_alu instid0(VALU_DEP_1) | instskip(SKIP_2) | instid1(VALU_DEP_3)
	v_dual_add_f32 v32, v33, v36 :: v_dual_fmamk_f32 v33, v22, 0x3e750f2a, v34
	v_fmamk_f32 v36, v53, 0xbf3f9e67, v30
	v_fma_f32 v30, 0xbf3f9e67, v53, -v30
	v_dual_fmac_f32 v34, 0xbe750f2a, v22 :: v_dual_add_f32 v33, v33, v39
	s_delay_alu instid0(VALU_DEP_2) | instskip(NEXT) | instid1(VALU_DEP_2)
	v_dual_mul_f32 v39, 0x3df6dbef, v13 :: v_dual_add_f32 v30, v30, v38
	v_dual_add_f32 v34, v34, v37 :: v_dual_mul_f32 v37, 0x3f7e222b, v51
	v_mul_f32_e32 v13, 0x3f62ad3f, v13
	s_delay_alu instid0(VALU_DEP_3) | instskip(NEXT) | instid1(VALU_DEP_1)
	v_fmamk_f32 v38, v22, 0xbf7e222b, v39
	v_dual_fmac_f32 v39, 0x3f7e222b, v22 :: v_dual_add_f32 v38, v38, v49
	v_fma_f32 v31, 0xbf788fa5, v53, -v31
	s_delay_alu instid0(VALU_DEP_1) | instskip(SKIP_4) | instid1(VALU_DEP_4)
	v_add_f32_e32 v31, v31, v35
	v_dual_add_f32 v35, v36, v41 :: v_dual_fmamk_f32 v36, v22, 0xbf29c268, v52
	v_fmac_f32_e32 v52, 0x3f29c268, v22
	v_fmamk_f32 v41, v53, 0x3df6dbef, v37
	v_fma_f32 v37, 0x3df6dbef, v53, -v37
	v_add_f32_e32 v36, v36, v43
	v_mul_f32_e32 v43, 0x3eedf032, v51
	s_delay_alu instid0(VALU_DEP_4) | instskip(NEXT) | instid1(VALU_DEP_4)
	v_add_f32_e32 v41, v41, v48
	v_dual_add_f32 v37, v37, v46 :: v_dual_sub_f32 v46, v40, v24
	v_add_f32_e32 v24, v40, v24
	s_delay_alu instid0(VALU_DEP_4) | instskip(SKIP_2) | instid1(VALU_DEP_4)
	v_dual_fmamk_f32 v48, v53, 0x3f62ad3f, v43 :: v_dual_add_f32 v39, v39, v47
	v_add_f32_e32 v49, v45, v21
	v_sub_f32_e32 v21, v45, v21
	v_mul_f32_e32 v45, 0xbf788fa5, v24
	s_delay_alu instid0(VALU_DEP_4) | instskip(SKIP_4) | instid1(VALU_DEP_4)
	v_add_f32_e32 v47, v48, v50
	v_mul_f32_e32 v50, 0xbf7e222b, v46
	v_fmamk_f32 v48, v22, 0xbeedf032, v13
	v_fma_f32 v40, 0x3f62ad3f, v53, -v43
	v_fmac_f32_e32 v13, 0x3eedf032, v22
	v_dual_mul_f32 v43, 0x3df6dbef, v24 :: v_dual_fmamk_f32 v22, v49, 0x3df6dbef, v50
	v_add_f32_e32 v42, v52, v42
	s_delay_alu instid0(VALU_DEP_3) | instskip(NEXT) | instid1(VALU_DEP_3)
	v_dual_add_f32 v10, v40, v10 :: v_dual_add_f32 v11, v13, v11
	v_dual_fmamk_f32 v13, v21, 0x3f7e222b, v43 :: v_dual_add_f32 v12, v22, v12
	v_mul_f32_e32 v22, 0xbe750f2a, v46
	v_fma_f32 v40, 0x3df6dbef, v49, -v50
	s_delay_alu instid0(VALU_DEP_3) | instskip(SKIP_1) | instid1(VALU_DEP_4)
	v_dual_add_f32 v26, v48, v26 :: v_dual_add_f32 v13, v13, v15
	v_mul_f32_e32 v48, 0x3f62ad3f, v24
	v_fmamk_f32 v15, v49, 0xbf788fa5, v22
	s_delay_alu instid0(VALU_DEP_4) | instskip(SKIP_1) | instid1(VALU_DEP_3)
	v_dual_add_f32 v23, v40, v23 :: v_dual_fmamk_f32 v40, v21, 0x3e750f2a, v45
	v_fma_f32 v22, 0xbf788fa5, v49, -v22
	v_add_f32_e32 v15, v15, v27
	s_delay_alu instid0(VALU_DEP_3) | instskip(SKIP_1) | instid1(VALU_DEP_4)
	v_add_f32_e32 v27, v40, v28
	v_mul_f32_e32 v40, 0xbeb58ec6, v24
	v_dual_fmac_f32 v45, 0xbe750f2a, v21 :: v_dual_add_f32 v18, v22, v18
	s_delay_alu instid0(VALU_DEP_1) | instskip(NEXT) | instid1(VALU_DEP_1)
	v_dual_add_f32 v22, v45, v29 :: v_dual_mul_f32 v29, 0x3eedf032, v46
	v_fmamk_f32 v45, v49, 0x3f62ad3f, v29
	v_fmac_f32_e32 v43, 0xbf7e222b, v21
	s_delay_alu instid0(VALU_DEP_1) | instskip(SKIP_1) | instid1(VALU_DEP_1)
	v_add_f32_e32 v25, v43, v25
	v_mul_f32_e32 v43, 0x3f6f5d39, v46
	v_fmamk_f32 v28, v49, 0xbeb58ec6, v43
	s_delay_alu instid0(VALU_DEP_1) | instskip(SKIP_2) | instid1(VALU_DEP_2)
	v_add_f32_e32 v28, v28, v32
	v_fmamk_f32 v32, v21, 0xbf6f5d39, v40
	v_fmac_f32_e32 v40, 0x3f6f5d39, v21
	v_add_f32_e32 v32, v32, v33
	s_delay_alu instid0(VALU_DEP_2) | instskip(SKIP_3) | instid1(VALU_DEP_3)
	v_dual_add_f32 v33, v40, v34 :: v_dual_add_f32 v34, v45, v35
	v_fmamk_f32 v35, v21, 0xbeedf032, v48
	v_mul_f32_e32 v40, 0xbf52af12, v46
	v_mul_f32_e32 v45, 0xbf29c268, v46
	v_dual_fmac_f32 v48, 0x3eedf032, v21 :: v_dual_add_f32 v35, v35, v36
	s_delay_alu instid0(VALU_DEP_3) | instskip(SKIP_1) | instid1(VALU_DEP_3)
	v_fmamk_f32 v36, v49, 0x3f116cb1, v40
	v_fma_f32 v40, 0x3f116cb1, v49, -v40
	v_add_f32_e32 v42, v48, v42
	s_delay_alu instid0(VALU_DEP_3) | instskip(NEXT) | instid1(VALU_DEP_3)
	v_add_f32_e32 v36, v36, v41
	v_dual_add_f32 v37, v40, v37 :: v_dual_sub_f32 v40, v14, v20
	v_fma_f32 v43, 0xbeb58ec6, v49, -v43
	v_add_f32_e32 v14, v14, v20
	v_fma_f32 v29, 0x3f62ad3f, v49, -v29
	s_delay_alu instid0(VALU_DEP_3) | instskip(SKIP_1) | instid1(VALU_DEP_3)
	v_dual_mul_f32 v46, 0xbf6f5d39, v40 :: v_dual_add_f32 v31, v43, v31
	v_mul_f32_e32 v43, 0x3f116cb1, v24
	v_dual_add_f32 v29, v29, v30 :: v_dual_mul_f32 v24, 0xbf3f9e67, v24
	s_delay_alu instid0(VALU_DEP_1) | instskip(SKIP_2) | instid1(VALU_DEP_3)
	v_fmamk_f32 v41, v21, 0x3f29c268, v24
	v_fmac_f32_e32 v24, 0xbf29c268, v21
	v_fma_f32 v20, 0xbf3f9e67, v49, -v45
	v_add_f32_e32 v26, v41, v26
	v_fmamk_f32 v30, v21, 0x3f52af12, v43
	s_delay_alu instid0(VALU_DEP_3) | instskip(SKIP_2) | instid1(VALU_DEP_3)
	v_dual_fmac_f32 v43, 0xbf52af12, v21 :: v_dual_add_f32 v10, v20, v10
	v_add_f32_e32 v11, v24, v11
	v_mul_f32_e32 v41, 0xbf3f9e67, v14
	v_dual_add_f32 v30, v30, v38 :: v_dual_add_f32 v39, v43, v39
	v_add_f32_e32 v43, v44, v19
	v_dual_sub_f32 v19, v44, v19 :: v_dual_mul_f32 v44, 0xbeb58ec6, v14
	v_fmamk_f32 v38, v49, 0xbf3f9e67, v45
	v_mul_f32_e32 v45, 0x3df6dbef, v14
	s_delay_alu instid0(VALU_DEP_3) | instskip(SKIP_2) | instid1(VALU_DEP_3)
	v_fmamk_f32 v20, v19, 0x3f6f5d39, v44
	v_fmamk_f32 v21, v43, 0xbeb58ec6, v46
	v_fma_f32 v24, 0xbeb58ec6, v43, -v46
	v_dual_add_f32 v38, v38, v47 :: v_dual_add_f32 v13, v20, v13
	s_delay_alu instid0(VALU_DEP_3) | instskip(SKIP_1) | instid1(VALU_DEP_1)
	v_add_f32_e32 v12, v21, v12
	v_mul_f32_e32 v21, 0x3f29c268, v40
	v_fmamk_f32 v20, v43, 0xbf3f9e67, v21
	v_fmac_f32_e32 v44, 0xbf6f5d39, v19
	v_add_f32_e32 v23, v24, v23
	s_delay_alu instid0(VALU_DEP_3) | instskip(NEXT) | instid1(VALU_DEP_3)
	v_add_f32_e32 v15, v20, v15
	v_dual_add_f32 v24, v44, v25 :: v_dual_fmamk_f32 v25, v19, 0xbf29c268, v41
	v_mul_f32_e32 v44, 0x3eedf032, v40
	v_fma_f32 v20, 0xbf3f9e67, v43, -v21
	s_delay_alu instid0(VALU_DEP_3) | instskip(NEXT) | instid1(VALU_DEP_3)
	v_add_f32_e32 v21, v25, v27
	v_fmamk_f32 v25, v43, 0x3f62ad3f, v44
	v_mul_f32_e32 v27, 0x3f62ad3f, v14
	s_delay_alu instid0(VALU_DEP_2) | instskip(NEXT) | instid1(VALU_DEP_2)
	v_dual_add_f32 v18, v20, v18 :: v_dual_add_f32 v25, v25, v28
	v_fmamk_f32 v28, v19, 0xbeedf032, v27
	s_delay_alu instid0(VALU_DEP_1) | instskip(NEXT) | instid1(VALU_DEP_1)
	v_dual_fmac_f32 v27, 0x3eedf032, v19 :: v_dual_add_f32 v28, v28, v32
	v_add_f32_e32 v27, v27, v33
	v_fmamk_f32 v33, v19, 0x3f7e222b, v45
	v_fmac_f32_e32 v45, 0xbf7e222b, v19
	s_delay_alu instid0(VALU_DEP_1) | instskip(NEXT) | instid1(VALU_DEP_1)
	v_dual_fmac_f32 v41, 0x3f29c268, v19 :: v_dual_add_f32 v42, v45, v42
	v_add_f32_e32 v20, v41, v22
	v_mul_f32_e32 v22, 0xbf7e222b, v40
	v_fma_f32 v41, 0x3f62ad3f, v43, -v44
	s_delay_alu instid0(VALU_DEP_1) | instskip(SKIP_3) | instid1(VALU_DEP_4)
	v_dual_fmamk_f32 v44, v43, 0x3df6dbef, v22 :: v_dual_add_f32 v31, v41, v31
	v_fma_f32 v22, 0x3df6dbef, v43, -v22
	v_mul_f32_e32 v41, 0xbf788fa5, v14
	v_mul_f32_e32 v14, 0x3f116cb1, v14
	v_add_f32_e32 v32, v44, v34
	v_mul_f32_e32 v34, 0x3e750f2a, v40
	s_delay_alu instid0(VALU_DEP_4) | instskip(SKIP_2) | instid1(VALU_DEP_2)
	v_dual_add_f32 v22, v22, v29 :: v_dual_fmamk_f32 v29, v19, 0xbe750f2a, v41
	v_mul_f32_e32 v40, 0x3f52af12, v40
	v_fmac_f32_e32 v41, 0x3e750f2a, v19
	v_dual_add_f32 v29, v29, v30 :: v_dual_fmamk_f32 v30, v43, 0x3f116cb1, v40
	s_delay_alu instid0(VALU_DEP_1) | instskip(SKIP_2) | instid1(VALU_DEP_2)
	v_add_f32_e32 v30, v30, v38
	v_fmamk_f32 v38, v19, 0xbf52af12, v14
	v_fmac_f32_e32 v14, 0x3f52af12, v19
	v_dual_add_f32 v26, v38, v26 :: v_dual_add_f32 v33, v33, v35
	v_fmamk_f32 v35, v43, 0xbf788fa5, v34
	v_fma_f32 v34, 0xbf788fa5, v43, -v34
	s_delay_alu instid0(VALU_DEP_1)
	v_dual_add_f32 v35, v35, v36 :: v_dual_add_f32 v34, v34, v37
	v_sub_f32_e32 v36, v9, v16
	v_add_f32_e32 v37, v41, v39
	v_add_f32_e32 v39, v8, v17
	;; [unrolled: 1-line block ×3, first 2 shown]
	v_fma_f32 v16, 0x3f116cb1, v43, -v40
	v_dual_mul_f32 v41, 0xbf29c268, v36 :: v_dual_sub_f32 v8, v8, v17
	v_add_f32_e32 v11, v14, v11
	s_delay_alu instid0(VALU_DEP_3) | instskip(SKIP_1) | instid1(VALU_DEP_2)
	v_dual_mul_f32 v19, 0xbf3f9e67, v9 :: v_dual_add_f32 v10, v16, v10
	v_mul_f32_e32 v16, 0x3f7e222b, v36
	v_fmamk_f32 v14, v8, 0x3f29c268, v19
	v_fmamk_f32 v17, v39, 0xbf3f9e67, v41
	s_delay_alu instid0(VALU_DEP_1) | instskip(SKIP_3) | instid1(VALU_DEP_3)
	v_dual_add_f32 v13, v14, v13 :: v_dual_add_f32 v12, v17, v12
	v_fma_f32 v17, 0xbf3f9e67, v39, -v41
	v_fmamk_f32 v14, v39, 0x3df6dbef, v16
	v_mul_f32_e32 v38, 0x3df6dbef, v9
	v_dual_mul_f32 v40, 0xbf788fa5, v9 :: v_dual_add_f32 v17, v17, v23
	s_delay_alu instid0(VALU_DEP_2) | instskip(SKIP_2) | instid1(VALU_DEP_3)
	v_dual_add_f32 v14, v14, v15 :: v_dual_fmamk_f32 v23, v8, 0xbf7e222b, v38
	v_fma_f32 v15, 0x3df6dbef, v39, -v16
	v_fmac_f32_e32 v38, 0x3f7e222b, v8
	v_add_f32_e32 v16, v23, v21
	s_delay_alu instid0(VALU_DEP_2) | instskip(SKIP_2) | instid1(VALU_DEP_2)
	v_dual_add_f32 v15, v15, v18 :: v_dual_add_f32 v18, v38, v20
	v_mul_f32_e32 v20, 0x3e750f2a, v36
	v_mul_f32_e32 v23, 0x3f116cb1, v9
	v_fmamk_f32 v38, v39, 0xbf788fa5, v20
	v_fma_f32 v20, 0xbf788fa5, v39, -v20
	s_delay_alu instid0(VALU_DEP_1) | instskip(NEXT) | instid1(VALU_DEP_1)
	v_dual_add_f32 v20, v20, v22 :: v_dual_fmac_f32 v19, 0xbf29c268, v8
	v_add_f32_e32 v19, v19, v24
	v_mul_f32_e32 v24, 0xbf52af12, v36
	s_delay_alu instid0(VALU_DEP_1) | instskip(SKIP_1) | instid1(VALU_DEP_2)
	v_fmamk_f32 v21, v39, 0x3f116cb1, v24
	v_fma_f32 v24, 0x3f116cb1, v39, -v24
	v_add_f32_e32 v21, v21, v25
	v_fmamk_f32 v25, v8, 0x3f52af12, v23
	s_delay_alu instid0(VALU_DEP_3) | instskip(SKIP_1) | instid1(VALU_DEP_2)
	v_dual_fmac_f32 v23, 0xbf52af12, v8 :: v_dual_add_f32 v24, v24, v31
	v_mul_f32_e32 v31, 0x3eedf032, v36
	v_dual_mul_f32 v36, 0xbf6f5d39, v36 :: v_dual_add_f32 v23, v23, v27
	v_dual_add_f32 v27, v38, v32 :: v_dual_mul_f32 v32, 0x3f62ad3f, v9
	v_mul_f32_e32 v9, 0xbeb58ec6, v9
	s_delay_alu instid0(VALU_DEP_2) | instskip(NEXT) | instid1(VALU_DEP_1)
	v_fmamk_f32 v22, v8, 0xbeedf032, v32
	v_dual_add_f32 v22, v22, v29 :: v_dual_fmamk_f32 v29, v39, 0xbeb58ec6, v36
	s_delay_alu instid0(VALU_DEP_1) | instskip(NEXT) | instid1(VALU_DEP_4)
	v_dual_fmac_f32 v32, 0x3eedf032, v8 :: v_dual_add_f32 v29, v29, v30
	v_fmamk_f32 v30, v8, 0x3f6f5d39, v9
	s_delay_alu instid0(VALU_DEP_2) | instskip(NEXT) | instid1(VALU_DEP_2)
	v_dual_add_f32 v32, v32, v37 :: v_dual_fmac_f32 v9, 0xbf6f5d39, v8
	v_dual_add_f32 v26, v30, v26 :: v_dual_add_f32 v25, v25, v28
	v_fmamk_f32 v28, v8, 0xbe750f2a, v40
	s_delay_alu instid0(VALU_DEP_1) | instskip(SKIP_1) | instid1(VALU_DEP_2)
	v_dual_add_f32 v28, v28, v33 :: v_dual_fmamk_f32 v33, v39, 0x3f62ad3f, v31
	v_fma_f32 v31, 0x3f62ad3f, v39, -v31
	v_dual_fmac_f32 v40, 0x3e750f2a, v8 :: v_dual_add_f32 v33, v33, v35
	s_delay_alu instid0(VALU_DEP_2) | instskip(NEXT) | instid1(VALU_DEP_2)
	v_dual_add_f32 v31, v31, v34 :: v_dual_sub_f32 v34, v6, v7
	v_add_f32_e32 v38, v40, v42
	v_dual_add_f32 v40, v6, v7 :: v_dual_add_f32 v35, v4, v5
	v_fma_f32 v6, 0xbeb58ec6, v39, -v36
	s_delay_alu instid0(VALU_DEP_4) | instskip(NEXT) | instid1(VALU_DEP_3)
	v_dual_mul_f32 v37, 0xbe750f2a, v34 :: v_dual_sub_f32 v36, v4, v5
	v_mul_f32_e32 v7, 0xbf788fa5, v40
	v_add_f32_e32 v39, v9, v11
	v_mul_f32_e32 v9, 0x3eedf032, v34
	s_delay_alu instid0(VALU_DEP_4) | instskip(SKIP_2) | instid1(VALU_DEP_4)
	v_fmamk_f32 v4, v35, 0xbf788fa5, v37
	v_mul_f32_e32 v11, 0x3f62ad3f, v40
	v_dual_fmamk_f32 v5, v36, 0x3e750f2a, v7 :: v_dual_add_f32 v30, v6, v10
	v_fmamk_f32 v8, v35, 0x3f62ad3f, v9
	s_delay_alu instid0(VALU_DEP_4) | instskip(NEXT) | instid1(VALU_DEP_3)
	v_add_f32_e32 v4, v4, v12
	v_dual_fmamk_f32 v10, v36, 0xbeedf032, v11 :: v_dual_add_f32 v5, v5, v13
	v_fma_f32 v12, 0x3f62ad3f, v35, -v9
	s_delay_alu instid0(VALU_DEP_4) | instskip(NEXT) | instid1(VALU_DEP_3)
	v_dual_add_f32 v8, v8, v14 :: v_dual_fmac_f32 v11, 0x3eedf032, v36
	v_add_f32_e32 v9, v10, v16
	v_mul_f32_e32 v16, 0xbf3f9e67, v40
	v_fma_f32 v6, 0xbf788fa5, v35, -v37
	v_dual_mul_f32 v13, 0xbf29c268, v34 :: v_dual_add_f32 v10, v12, v15
	v_add_f32_e32 v11, v11, v18
	s_delay_alu instid0(VALU_DEP_3) | instskip(NEXT) | instid1(VALU_DEP_3)
	v_dual_mul_f32 v37, 0xbeb58ec6, v40 :: v_dual_add_f32 v6, v6, v17
	v_fmamk_f32 v14, v35, 0xbf3f9e67, v13
	s_delay_alu instid0(VALU_DEP_1) | instskip(SKIP_3) | instid1(VALU_DEP_4)
	v_dual_mul_f32 v17, 0x3f52af12, v34 :: v_dual_add_f32 v12, v14, v21
	v_fmamk_f32 v14, v36, 0x3f29c268, v16
	v_fmac_f32_e32 v16, 0xbf29c268, v36
	v_fma_f32 v15, 0xbf3f9e67, v35, -v13
	v_fmamk_f32 v18, v35, 0x3f116cb1, v17
	v_fmac_f32_e32 v7, 0xbe750f2a, v36
	v_add_f32_e32 v13, v14, v25
	v_fma_f32 v21, 0x3f116cb1, v35, -v17
	v_dual_add_f32 v14, v15, v24 :: v_dual_add_f32 v15, v16, v23
	v_mul_f32_e32 v24, 0x3f7e222b, v34
	v_add_f32_e32 v16, v18, v27
	v_add_f32_e32 v7, v7, v19
	v_mul_f32_e32 v19, 0x3f116cb1, v40
	v_mul_f32_e32 v23, 0xbf6f5d39, v34
	;; [unrolled: 1-line block ×3, first 2 shown]
	s_delay_alu instid0(VALU_DEP_3) | instskip(NEXT) | instid1(VALU_DEP_2)
	v_fmamk_f32 v18, v36, 0xbf52af12, v19
	v_fmamk_f32 v25, v36, 0xbf7e222b, v27
	v_fmac_f32_e32 v27, 0x3f7e222b, v36
	s_delay_alu instid0(VALU_DEP_3)
	v_add_f32_e32 v17, v18, v28
	v_add_f32_e32 v18, v21, v20
	v_fmamk_f32 v20, v35, 0xbeb58ec6, v23
	v_fmamk_f32 v21, v36, 0x3f6f5d39, v37
	v_fma_f32 v23, 0xbeb58ec6, v35, -v23
	v_fmac_f32_e32 v19, 0x3f52af12, v36
	v_fma_f32 v28, 0x3df6dbef, v35, -v24
	s_delay_alu instid0(VALU_DEP_4) | instskip(NEXT) | instid1(VALU_DEP_4)
	v_dual_add_f32 v20, v20, v33 :: v_dual_add_f32 v21, v21, v22
	v_add_f32_e32 v22, v23, v31
	v_fmamk_f32 v23, v35, 0x3df6dbef, v24
	v_add_f32_e32 v25, v25, v26
	v_dual_add_f32 v26, v28, v30 :: v_dual_add_f32 v27, v27, v39
	v_add_f32_e32 v19, v19, v38
	s_delay_alu instid0(VALU_DEP_4) | instskip(NEXT) | instid1(VALU_DEP_1)
	v_dual_add_f32 v24, v23, v29 :: v_dual_fmac_f32 v37, 0xbf6f5d39, v36
	v_add_f32_e32 v23, v37, v32
	ds_store_2addr_b64 v106, v[0:1], v[4:5] offset1:65
	ds_store_2addr_b64 v106, v[8:9], v[12:13] offset0:130 offset1:195
	ds_store_2addr_b64 v3, v[16:17], v[20:21] offset0:4 offset1:69
	;; [unrolled: 1-line block ×5, first 2 shown]
	ds_store_b64 v106, v[6:7] offset:6240
	global_wb scope:SCOPE_SE
	s_wait_dscnt 0x0
	s_barrier_signal -1
	s_barrier_wait -1
	global_inv scope:SCOPE_SE
	ds_load_2addr_b64 v[4:7], v106 offset1:65
	v_mad_co_u64_u32 v[20:21], null, s6, v88, 0
	v_mad_co_u64_u32 v[22:23], null, s4, v105, 0
	ds_load_b64 v[40:41], v106 offset:6240
	s_wait_dscnt 0x1
	v_mul_f32_e32 v0, v100, v5
	v_dual_mul_f32 v1, v100, v4 :: v_dual_mul_f32 v10, v102, v6
	s_delay_alu instid0(VALU_DEP_2) | instskip(SKIP_1) | instid1(VALU_DEP_3)
	v_fmac_f32_e32 v0, v99, v4
	v_mul_f32_e32 v4, v102, v7
	v_fma_f32 v5, v99, v5, -v1
	s_wait_dscnt 0x0
	v_mul_f32_e32 v50, v92, v41
	v_mul_f32_e32 v51, v92, v40
	v_cvt_f64_f32_e32 v[0:1], v0
	v_fmac_f32_e32 v4, v101, v6
	v_cvt_f64_f32_e32 v[8:9], v5
	v_fma_f32 v5, v101, v7, -v10
	v_fmac_f32_e32 v50, v91, v40
	v_fma_f32 v52, v91, v41, -v51
	v_cvt_f64_f32_e32 v[10:11], v4
	s_delay_alu instid0(VALU_DEP_4)
	v_cvt_f64_f32_e32 v[12:13], v5
	ds_load_2addr_b64 v[4:7], v106 offset0:130 offset1:195
	v_cvt_f64_f32_e32 v[50:51], v50
	v_cvt_f64_f32_e32 v[52:53], v52
	s_wait_dscnt 0x0
	v_mul_f32_e32 v18, v98, v5
	s_delay_alu instid0(VALU_DEP_1) | instskip(SKIP_3) | instid1(VALU_DEP_3)
	v_fmac_f32_e32 v18, v97, v4
	v_mul_f32_e32 v4, v98, v4
	s_wait_alu 0xfffe
	v_mul_f64_e32 v[0:1], s[2:3], v[0:1]
	v_cvt_f64_f32_e32 v[18:19], v18
	v_mul_f64_e32 v[14:15], s[2:3], v[8:9]
	v_dual_mov_b32 v8, v21 :: v_dual_mov_b32 v9, v23
	v_fma_f32 v4, v97, v5, -v4
	v_mul_f64_e32 v[16:17], s[2:3], v[10:11]
	v_mul_f64_e32 v[12:13], s[2:3], v[12:13]
	s_delay_alu instid0(VALU_DEP_4)
	v_mad_co_u64_u32 v[23:24], null, s7, v88, v[8:9]
	v_mad_co_u64_u32 v[24:25], null, s5, v105, v[9:10]
	ds_load_2addr_b64 v[8:11], v3 offset0:4 offset1:69
	s_wait_dscnt 0x0
	v_mul_f32_e32 v36, v83, v10
	v_mul_f32_e32 v34, v83, v11
	v_cvt_f32_f64_e32 v0, v[0:1]
	s_delay_alu instid0(VALU_DEP_3) | instskip(SKIP_1) | instid1(VALU_DEP_4)
	v_fma_f32 v11, v82, v11, -v36
	v_cvt_f32_f64_e32 v1, v[14:15]
	v_fmac_f32_e32 v34, v82, v10
	v_mul_f64_e32 v[18:19], s[2:3], v[18:19]
	v_cvt_f32_f64_e32 v16, v[16:17]
	v_cvt_f32_f64_e32 v17, v[12:13]
	ds_load_2addr_b64 v[12:15], v3 offset0:134 offset1:199
	v_mov_b32_e32 v21, v23
	v_mov_b32_e32 v23, v24
	v_mul_f32_e32 v5, v94, v7
	v_cvt_f64_f32_e32 v[24:25], v4
	v_dual_mul_f32 v3, v94, v6 :: v_dual_mul_f32 v4, v96, v9
	v_cvt_f64_f32_e32 v[34:35], v34
	s_delay_alu instid0(VALU_DEP_2) | instskip(SKIP_1) | instid1(VALU_DEP_2)
	v_fmac_f32_e32 v4, v95, v8
	v_lshlrev_b64_e32 v[22:23], 3, v[22:23]
	v_cvt_f64_f32_e32 v[30:31], v4
	s_wait_dscnt 0x0
	v_mul_f32_e32 v38, v87, v15
	v_fma_f32 v3, v93, v7, -v3
	v_mul_f32_e32 v36, v87, v14
	v_dual_fmac_f32 v5, v93, v6 :: v_dual_mul_f32 v6, v96, v8
	s_delay_alu instid0(VALU_DEP_4) | instskip(NEXT) | instid1(VALU_DEP_4)
	v_dual_mul_f32 v37, v85, v12 :: v_dual_fmac_f32 v38, v86, v14
	v_cvt_f64_f32_e32 v[28:29], v3
	s_delay_alu instid0(VALU_DEP_3) | instskip(NEXT) | instid1(VALU_DEP_4)
	v_cvt_f64_f32_e32 v[26:27], v5
	v_fma_f32 v7, v95, v9, -v6
	ds_load_2addr_b64 v[3:6], v2 offset0:8 offset1:73
	v_fma_f32 v15, v86, v15, -v36
	v_fma_f32 v37, v84, v13, -v37
	v_cvt_f64_f32_e32 v[38:39], v38
	v_cvt_f64_f32_e32 v[32:33], v7
	ds_load_2addr_b64 v[7:10], v2 offset0:138 offset1:203
	v_mul_f32_e32 v2, v85, v13
	v_cvt_f64_f32_e32 v[42:43], v15
	v_cvt_f64_f32_e32 v[36:37], v37
	v_lshlrev_b64_e32 v[20:21], 3, v[20:21]
	v_cvt_f32_f64_e32 v18, v[18:19]
	v_fmac_f32_e32 v2, v84, v12
	v_cvt_f64_f32_e32 v[11:12], v11
	v_mul_f64_e32 v[24:25], s[2:3], v[24:25]
	v_mul_f64_e32 v[34:35], s[2:3], v[34:35]
	s_delay_alu instid0(VALU_DEP_4)
	v_cvt_f64_f32_e32 v[13:14], v2
	s_wait_dscnt 0x1
	v_mul_f32_e32 v15, v77, v3
	v_mul_f32_e32 v2, v77, v4
	;; [unrolled: 1-line block ×3, first 2 shown]
	s_wait_dscnt 0x0
	v_mul_f32_e32 v48, v79, v8
	v_fma_f32 v4, v76, v4, -v15
	v_mul_f32_e32 v15, v90, v10
	v_dual_mul_f32 v45, v81, v5 :: v_dual_fmac_f32 v2, v76, v3
	s_delay_alu instid0(VALU_DEP_2) | instskip(NEXT) | instid1(VALU_DEP_2)
	v_dual_fmac_f32 v48, v78, v7 :: v_dual_fmac_f32 v15, v89, v9
	v_fma_f32 v6, v80, v6, -v45
	s_delay_alu instid0(VALU_DEP_3) | instskip(NEXT) | instid1(VALU_DEP_3)
	v_cvt_f64_f32_e32 v[2:3], v2
	v_cvt_f64_f32_e32 v[48:49], v48
	s_delay_alu instid0(VALU_DEP_3) | instskip(SKIP_3) | instid1(VALU_DEP_3)
	v_cvt_f64_f32_e32 v[46:47], v6
	v_dual_mul_f32 v6, v79, v7 :: v_dual_mul_f32 v7, v90, v9
	v_fmac_f32_e32 v44, v80, v5
	v_cvt_f64_f32_e32 v[4:5], v4
	v_fma_f32 v6, v78, v8, -v6
	s_delay_alu instid0(VALU_DEP_4) | instskip(NEXT) | instid1(VALU_DEP_4)
	v_fma_f32 v10, v89, v10, -v7
	v_cvt_f64_f32_e32 v[44:45], v44
	v_cvt_f64_f32_e32 v[8:9], v15
	s_delay_alu instid0(VALU_DEP_4) | instskip(NEXT) | instid1(VALU_DEP_4)
	v_cvt_f64_f32_e32 v[6:7], v6
	v_cvt_f64_f32_e32 v[40:41], v10
	v_add_co_u32 v10, vcc_lo, s0, v20
	s_wait_alu 0xfffd
	v_add_co_ci_u32_e32 v15, vcc_lo, s1, v21, vcc_lo
	v_mul_f64_e32 v[20:21], s[2:3], v[26:27]
	v_mul_f64_e32 v[26:27], s[2:3], v[28:29]
	v_add_co_u32 v22, vcc_lo, v10, v22
	v_mul_f64_e32 v[28:29], s[2:3], v[30:31]
	v_mul_f64_e32 v[30:31], s[2:3], v[32:33]
	;; [unrolled: 1-line block ×3, first 2 shown]
	s_wait_alu 0xfffd
	v_add_co_ci_u32_e32 v23, vcc_lo, v15, v23, vcc_lo
	s_mul_u64 s[0:1], s[4:5], 0x208
	v_mul_f64_e32 v[12:13], s[2:3], v[13:14]
	s_wait_alu 0xfffe
	v_add_co_u32 v32, vcc_lo, v22, s0
	v_mul_f64_e32 v[14:15], s[2:3], v[36:37]
	s_wait_alu 0xfffd
	v_add_co_ci_u32_e32 v33, vcc_lo, s1, v23, vcc_lo
	s_clause 0x1
	global_store_b64 v[22:23], v[0:1], off
	global_store_b64 v[32:33], v[16:17], off
	v_mul_f64_e32 v[0:1], s[2:3], v[38:39]
	v_mul_f64_e32 v[16:17], s[2:3], v[42:43]
	;; [unrolled: 1-line block ×7, first 2 shown]
	v_cvt_f32_f64_e32 v19, v[24:25]
	v_add_co_u32 v24, vcc_lo, v32, s0
	v_mul_f64_e32 v[22:23], s[2:3], v[44:45]
	v_mul_f64_e32 v[8:9], s[2:3], v[8:9]
	;; [unrolled: 1-line block ×5, first 2 shown]
	s_wait_alu 0xfffd
	v_add_co_ci_u32_e32 v25, vcc_lo, s1, v33, vcc_lo
	v_cvt_f32_f64_e32 v32, v[34:35]
	v_cvt_f32_f64_e32 v20, v[20:21]
	;; [unrolled: 1-line block ×3, first 2 shown]
	v_add_co_u32 v26, vcc_lo, v24, s0
	v_cvt_f32_f64_e32 v28, v[28:29]
	v_cvt_f32_f64_e32 v29, v[30:31]
	;; [unrolled: 1-line block ×3, first 2 shown]
	s_wait_alu 0xfffd
	v_add_co_ci_u32_e32 v27, vcc_lo, s1, v25, vcc_lo
	v_add_co_u32 v30, vcc_lo, v26, s0
	v_cvt_f32_f64_e32 v10, v[12:13]
	s_wait_alu 0xfffd
	s_delay_alu instid0(VALU_DEP_3) | instskip(SKIP_3) | instid1(VALU_DEP_3)
	v_add_co_ci_u32_e32 v31, vcc_lo, s1, v27, vcc_lo
	v_cvt_f32_f64_e32 v11, v[14:15]
	v_add_co_u32 v12, vcc_lo, v30, s0
	s_wait_alu 0xfffd
	v_add_co_ci_u32_e32 v13, vcc_lo, s1, v31, vcc_lo
	v_cvt_f32_f64_e32 v0, v[0:1]
	v_cvt_f32_f64_e32 v1, v[16:17]
	;; [unrolled: 1-line block ×3, first 2 shown]
	v_add_co_u32 v16, vcc_lo, v12, s0
	v_cvt_f32_f64_e32 v14, v[38:39]
	v_cvt_f32_f64_e32 v3, v[4:5]
	;; [unrolled: 1-line block ×3, first 2 shown]
	s_wait_alu 0xfffd
	v_add_co_ci_u32_e32 v17, vcc_lo, s1, v13, vcc_lo
	v_cvt_f32_f64_e32 v4, v[22:23]
	global_store_b64 v[24:25], v[18:19], off
	v_add_co_u32 v18, vcc_lo, v16, s0
	v_cvt_f32_f64_e32 v15, v[6:7]
	v_cvt_f32_f64_e32 v6, v[8:9]
	;; [unrolled: 1-line block ×5, first 2 shown]
	s_wait_alu 0xfffd
	v_add_co_ci_u32_e32 v19, vcc_lo, s1, v17, vcc_lo
	global_store_b64 v[26:27], v[20:21], off
	v_add_co_u32 v20, vcc_lo, v18, s0
	s_wait_alu 0xfffd
	v_add_co_ci_u32_e32 v21, vcc_lo, s1, v19, vcc_lo
	global_store_b64 v[30:31], v[28:29], off
	v_add_co_u32 v22, vcc_lo, v20, s0
	;; [unrolled: 4-line block ×5, first 2 shown]
	s_wait_alu 0xfffd
	v_add_co_ci_u32_e32 v1, vcc_lo, s1, v11, vcc_lo
	global_store_b64 v[20:21], v[2:3], off
	global_store_b64 v[22:23], v[4:5], off
	;; [unrolled: 1-line block ×5, first 2 shown]
.LBB0_10:
	s_nop 0
	s_sendmsg sendmsg(MSG_DEALLOC_VGPRS)
	s_endpgm
	.section	.rodata,"a",@progbits
	.p2align	6, 0x0
	.amdhsa_kernel bluestein_single_fwd_len845_dim1_sp_op_CI_CI
		.amdhsa_group_segment_fixed_size 20280
		.amdhsa_private_segment_fixed_size 0
		.amdhsa_kernarg_size 104
		.amdhsa_user_sgpr_count 2
		.amdhsa_user_sgpr_dispatch_ptr 0
		.amdhsa_user_sgpr_queue_ptr 0
		.amdhsa_user_sgpr_kernarg_segment_ptr 1
		.amdhsa_user_sgpr_dispatch_id 0
		.amdhsa_user_sgpr_private_segment_size 0
		.amdhsa_wavefront_size32 1
		.amdhsa_uses_dynamic_stack 0
		.amdhsa_enable_private_segment 0
		.amdhsa_system_sgpr_workgroup_id_x 1
		.amdhsa_system_sgpr_workgroup_id_y 0
		.amdhsa_system_sgpr_workgroup_id_z 0
		.amdhsa_system_sgpr_workgroup_info 0
		.amdhsa_system_vgpr_workitem_id 0
		.amdhsa_next_free_vgpr 232
		.amdhsa_next_free_sgpr 20
		.amdhsa_reserve_vcc 1
		.amdhsa_float_round_mode_32 0
		.amdhsa_float_round_mode_16_64 0
		.amdhsa_float_denorm_mode_32 3
		.amdhsa_float_denorm_mode_16_64 3
		.amdhsa_fp16_overflow 0
		.amdhsa_workgroup_processor_mode 1
		.amdhsa_memory_ordered 1
		.amdhsa_forward_progress 0
		.amdhsa_round_robin_scheduling 0
		.amdhsa_exception_fp_ieee_invalid_op 0
		.amdhsa_exception_fp_denorm_src 0
		.amdhsa_exception_fp_ieee_div_zero 0
		.amdhsa_exception_fp_ieee_overflow 0
		.amdhsa_exception_fp_ieee_underflow 0
		.amdhsa_exception_fp_ieee_inexact 0
		.amdhsa_exception_int_div_zero 0
	.end_amdhsa_kernel
	.text
.Lfunc_end0:
	.size	bluestein_single_fwd_len845_dim1_sp_op_CI_CI, .Lfunc_end0-bluestein_single_fwd_len845_dim1_sp_op_CI_CI
                                        ; -- End function
	.section	.AMDGPU.csdata,"",@progbits
; Kernel info:
; codeLenInByte = 19192
; NumSgprs: 22
; NumVgprs: 232
; ScratchSize: 0
; MemoryBound: 0
; FloatMode: 240
; IeeeMode: 1
; LDSByteSize: 20280 bytes/workgroup (compile time only)
; SGPRBlocks: 2
; VGPRBlocks: 28
; NumSGPRsForWavesPerEU: 22
; NumVGPRsForWavesPerEU: 232
; Occupancy: 6
; WaveLimiterHint : 1
; COMPUTE_PGM_RSRC2:SCRATCH_EN: 0
; COMPUTE_PGM_RSRC2:USER_SGPR: 2
; COMPUTE_PGM_RSRC2:TRAP_HANDLER: 0
; COMPUTE_PGM_RSRC2:TGID_X_EN: 1
; COMPUTE_PGM_RSRC2:TGID_Y_EN: 0
; COMPUTE_PGM_RSRC2:TGID_Z_EN: 0
; COMPUTE_PGM_RSRC2:TIDIG_COMP_CNT: 0
	.text
	.p2alignl 7, 3214868480
	.fill 96, 4, 3214868480
	.type	__hip_cuid_b391b1be8b679b2c,@object ; @__hip_cuid_b391b1be8b679b2c
	.section	.bss,"aw",@nobits
	.globl	__hip_cuid_b391b1be8b679b2c
__hip_cuid_b391b1be8b679b2c:
	.byte	0                               ; 0x0
	.size	__hip_cuid_b391b1be8b679b2c, 1

	.ident	"AMD clang version 19.0.0git (https://github.com/RadeonOpenCompute/llvm-project roc-6.4.0 25133 c7fe45cf4b819c5991fe208aaa96edf142730f1d)"
	.section	".note.GNU-stack","",@progbits
	.addrsig
	.addrsig_sym __hip_cuid_b391b1be8b679b2c
	.amdgpu_metadata
---
amdhsa.kernels:
  - .args:
      - .actual_access:  read_only
        .address_space:  global
        .offset:         0
        .size:           8
        .value_kind:     global_buffer
      - .actual_access:  read_only
        .address_space:  global
        .offset:         8
        .size:           8
        .value_kind:     global_buffer
      - .actual_access:  read_only
        .address_space:  global
        .offset:         16
        .size:           8
        .value_kind:     global_buffer
      - .actual_access:  read_only
        .address_space:  global
        .offset:         24
        .size:           8
        .value_kind:     global_buffer
      - .actual_access:  read_only
        .address_space:  global
        .offset:         32
        .size:           8
        .value_kind:     global_buffer
      - .offset:         40
        .size:           8
        .value_kind:     by_value
      - .address_space:  global
        .offset:         48
        .size:           8
        .value_kind:     global_buffer
      - .address_space:  global
        .offset:         56
        .size:           8
        .value_kind:     global_buffer
      - .address_space:  global
        .offset:         64
        .size:           8
        .value_kind:     global_buffer
      - .address_space:  global
        .offset:         72
        .size:           8
        .value_kind:     global_buffer
      - .offset:         80
        .size:           4
        .value_kind:     by_value
      - .address_space:  global
        .offset:         88
        .size:           8
        .value_kind:     global_buffer
      - .address_space:  global
        .offset:         96
        .size:           8
        .value_kind:     global_buffer
    .group_segment_fixed_size: 20280
    .kernarg_segment_align: 8
    .kernarg_segment_size: 104
    .language:       OpenCL C
    .language_version:
      - 2
      - 0
    .max_flat_workgroup_size: 195
    .name:           bluestein_single_fwd_len845_dim1_sp_op_CI_CI
    .private_segment_fixed_size: 0
    .sgpr_count:     22
    .sgpr_spill_count: 0
    .symbol:         bluestein_single_fwd_len845_dim1_sp_op_CI_CI.kd
    .uniform_work_group_size: 1
    .uses_dynamic_stack: false
    .vgpr_count:     232
    .vgpr_spill_count: 0
    .wavefront_size: 32
    .workgroup_processor_mode: 1
amdhsa.target:   amdgcn-amd-amdhsa--gfx1201
amdhsa.version:
  - 1
  - 2
...

	.end_amdgpu_metadata
